;; amdgpu-corpus repo=ROCm/rocFFT kind=compiled arch=gfx950 opt=O3
	.text
	.amdgcn_target "amdgcn-amd-amdhsa--gfx950"
	.amdhsa_code_object_version 6
	.protected	bluestein_single_back_len702_dim1_dp_op_CI_CI ; -- Begin function bluestein_single_back_len702_dim1_dp_op_CI_CI
	.globl	bluestein_single_back_len702_dim1_dp_op_CI_CI
	.p2align	8
	.type	bluestein_single_back_len702_dim1_dp_op_CI_CI,@function
bluestein_single_back_len702_dim1_dp_op_CI_CI: ; @bluestein_single_back_len702_dim1_dp_op_CI_CI
; %bb.0:
	s_load_dwordx4 s[8:11], s[0:1], 0x28
	v_mul_u32_u24_e32 v1, 0x231, v0
	v_mov_b32_e32 v135, 0
	v_add_u32_sdwa v136, s2, v1 dst_sel:DWORD dst_unused:UNUSED_PAD src0_sel:DWORD src1_sel:WORD_1
	v_mov_b32_e32 v137, v135
	s_waitcnt lgkmcnt(0)
	v_cmp_gt_u64_e32 vcc, s[8:9], v[136:137]
	s_and_saveexec_b64 s[2:3], vcc
	s_cbranch_execz .LBB0_15
; %bb.1:
	s_load_dwordx2 s[8:9], s[0:1], 0x0
	s_load_dwordx2 s[12:13], s[0:1], 0x38
	s_movk_i32 s2, 0x75
	v_mul_lo_u16_sdwa v1, v1, s2 dst_sel:DWORD dst_unused:UNUSED_PAD src0_sel:WORD_1 src1_sel:DWORD
	v_sub_u16_e32 v134, v0, v1
	v_cmp_gt_u16_e64 s[2:3], 54, v134
	v_lshlrev_b32_e32 v132, 4, v134
	s_and_saveexec_b64 s[14:15], s[2:3]
	s_cbranch_execz .LBB0_3
; %bb.2:
	s_load_dwordx2 s[4:5], s[0:1], 0x18
	v_mov_b32_e32 v0, s10
	v_mov_b32_e32 v1, s11
	;; [unrolled: 1-line block ×4, first 2 shown]
	s_waitcnt lgkmcnt(0)
	s_load_dwordx4 s[4:7], s[4:5], 0x0
	v_lshl_add_u64 v[84:85], s[8:9], 0, v[132:133]
	s_waitcnt lgkmcnt(0)
	v_mad_u64_u32 v[2:3], s[10:11], s6, v136, 0
	v_mad_u64_u32 v[4:5], s[10:11], s4, v134, 0
	v_mov_b32_e32 v6, v3
	v_mov_b32_e32 v8, v5
	v_mad_u64_u32 v[6:7], s[6:7], s7, v136, v[6:7]
	v_mov_b32_e32 v3, v6
	v_mad_u64_u32 v[6:7], s[6:7], s5, v134, v[8:9]
	v_mov_b32_e32 v5, v6
	v_lshl_add_u64 v[0:1], v[2:3], 4, v[0:1]
	v_lshl_add_u64 v[4:5], v[4:5], 4, v[0:1]
	v_mad_u64_u32 v[20:21], s[6:7], s4, v98, v[4:5]
	s_mulk_i32 s5, 0x360
	v_add_u32_e32 v21, s5, v21
	v_mad_u64_u32 v[22:23], s[6:7], s4, v98, v[20:21]
	v_add_u32_e32 v23, s5, v23
	global_load_dwordx4 v[0:3], v[4:5], off
	v_mad_u64_u32 v[32:33], s[6:7], s4, v98, v[22:23]
	global_load_dwordx4 v[4:7], v132, s[8:9]
	global_load_dwordx4 v[8:11], v132, s[8:9] offset:864
	v_add_u32_e32 v33, s5, v33
	s_movk_i32 s6, 0x1000
	global_load_dwordx4 v[16:19], v[20:21], off
	global_load_dwordx4 v[12:15], v[22:23], off
	s_nop 0
	global_load_dwordx4 v[20:23], v132, s[8:9] offset:1728
	global_load_dwordx4 v[24:27], v132, s[8:9] offset:2592
	v_add_co_u32_e32 v64, vcc, s6, v84
	global_load_dwordx4 v[40:43], v[32:33], off
	v_mad_u64_u32 v[32:33], s[6:7], s4, v98, v[32:33]
	v_add_u32_e32 v33, s5, v33
	global_load_dwordx4 v[28:31], v132, s[8:9] offset:3456
	global_load_dwordx4 v[36:39], v[32:33], off
	v_mad_u64_u32 v[66:67], s[6:7], s4, v98, v[32:33]
	v_add_u32_e32 v67, s5, v67
	global_load_dwordx4 v[32:35], v[66:67], off
	v_mad_u64_u32 v[68:69], s[6:7], s4, v98, v[66:67]
	v_addc_co_u32_e32 v65, vcc, 0, v85, vcc
	v_add_u32_e32 v69, s5, v69
	global_load_dwordx4 v[44:47], v[64:65], off offset:224
	global_load_dwordx4 v[48:51], v[64:65], off offset:1088
	;; [unrolled: 1-line block ×5, first 2 shown]
	v_mad_u64_u32 v[72:73], s[6:7], s4, v98, v[68:69]
	global_load_dwordx4 v[64:67], v[68:69], off
	v_add_u32_e32 v73, s5, v73
	global_load_dwordx4 v[68:71], v[72:73], off
	v_mad_u64_u32 v[76:77], s[6:7], s4, v98, v[72:73]
	v_add_u32_e32 v77, s5, v77
	global_load_dwordx4 v[72:75], v[76:77], off
	v_mad_u64_u32 v[80:81], s[6:7], s4, v98, v[76:77]
	s_movk_i32 s10, 0x2000
	v_add_u32_e32 v81, s5, v81
	global_load_dwordx4 v[76:79], v[80:81], off
	v_mad_u64_u32 v[88:89], s[6:7], s4, v98, v[80:81]
	v_add_co_u32_e32 v104, vcc, s10, v84
	v_add_u32_e32 v89, s5, v89
	s_nop 0
	v_addc_co_u32_e32 v105, vcc, 0, v85, vcc
	global_load_dwordx4 v[80:83], v[88:89], off
	global_load_dwordx4 v[84:87], v[104:105], off offset:448
	v_mad_u64_u32 v[96:97], s[6:7], s4, v98, v[88:89]
	v_add_u32_e32 v97, s5, v97
	global_load_dwordx4 v[88:91], v[96:97], off
	global_load_dwordx4 v[92:95], v[104:105], off offset:1312
	v_mad_u64_u32 v[106:107], s[6:7], s4, v98, v[96:97]
	v_add_u32_e32 v107, s5, v107
	global_load_dwordx4 v[96:99], v[104:105], off offset:2176
	global_load_dwordx4 v[100:103], v[106:107], off
	s_waitcnt vmcnt(24)
	v_mul_f64 v[104:105], v[2:3], v[6:7]
	v_mul_f64 v[6:7], v[0:1], v[6:7]
	v_fmac_f64_e32 v[104:105], v[0:1], v[4:5]
	v_fma_f64 v[106:107], v[2:3], v[4:5], -v[6:7]
	s_waitcnt vmcnt(22)
	v_mul_f64 v[0:1], v[18:19], v[10:11]
	v_mul_f64 v[2:3], v[16:17], v[10:11]
	v_fmac_f64_e32 v[0:1], v[16:17], v[8:9]
	v_fma_f64 v[2:3], v[18:19], v[8:9], -v[2:3]
	s_waitcnt vmcnt(18)
	v_mul_f64 v[8:9], v[40:41], v[26:27]
	v_mul_f64 v[4:5], v[14:15], v[22:23]
	;; [unrolled: 1-line block ×3, first 2 shown]
	v_fma_f64 v[10:11], v[42:43], v[24:25], -v[8:9]
	v_mul_f64 v[8:9], v[42:43], v[26:27]
	v_fmac_f64_e32 v[4:5], v[12:13], v[20:21]
	v_fma_f64 v[6:7], v[14:15], v[20:21], -v[6:7]
	v_fmac_f64_e32 v[8:9], v[40:41], v[24:25]
	ds_write_b128 v132, v[104:107]
	ds_write_b128 v132, v[0:3] offset:864
	ds_write_b128 v132, v[4:7] offset:1728
	;; [unrolled: 1-line block ×3, first 2 shown]
	s_waitcnt vmcnt(16)
	v_mul_f64 v[0:1], v[36:37], v[30:31]
	v_fma_f64 v[2:3], v[38:39], v[28:29], -v[0:1]
	v_mul_f64 v[0:1], v[38:39], v[30:31]
	v_fmac_f64_e32 v[0:1], v[36:37], v[28:29]
	ds_write_b128 v132, v[0:3] offset:3456
	s_waitcnt vmcnt(14)
	v_mul_f64 v[0:1], v[34:35], v[46:47]
	v_mul_f64 v[2:3], v[32:33], v[46:47]
	v_fmac_f64_e32 v[0:1], v[32:33], v[44:45]
	v_fma_f64 v[2:3], v[34:35], v[44:45], -v[2:3]
	ds_write_b128 v132, v[0:3] offset:4320
	s_waitcnt vmcnt(9)
	v_mul_f64 v[0:1], v[66:67], v[50:51]
	v_mul_f64 v[2:3], v[64:65], v[50:51]
	v_fmac_f64_e32 v[0:1], v[64:65], v[48:49]
	v_fma_f64 v[2:3], v[66:67], v[48:49], -v[2:3]
	;; [unrolled: 6-line block ×8, first 2 shown]
	ds_write_b128 v132, v[0:3] offset:10368
.LBB0_3:
	s_or_b64 exec, exec, s[14:15]
	s_load_dwordx2 s[4:5], s[0:1], 0x20
	s_load_dwordx2 s[10:11], s[0:1], 0x8
	s_waitcnt lgkmcnt(0)
	s_barrier
	s_waitcnt lgkmcnt(0)
                                        ; implicit-def: $vgpr28_vgpr29
                                        ; implicit-def: $vgpr32_vgpr33
                                        ; implicit-def: $vgpr36_vgpr37
                                        ; implicit-def: $vgpr40_vgpr41
                                        ; implicit-def: $vgpr44_vgpr45
                                        ; implicit-def: $vgpr48_vgpr49
                                        ; implicit-def: $vgpr52_vgpr53
                                        ; implicit-def: $vgpr56_vgpr57
                                        ; implicit-def: $vgpr60_vgpr61
                                        ; implicit-def: $vgpr64_vgpr65
                                        ; implicit-def: $vgpr68_vgpr69
                                        ; implicit-def: $vgpr72_vgpr73
                                        ; implicit-def: $vgpr76_vgpr77
	s_and_saveexec_b64 s[0:1], s[2:3]
	s_cbranch_execz .LBB0_5
; %bb.4:
	ds_read_b128 v[28:31], v132
	ds_read_b128 v[32:35], v132 offset:864
	ds_read_b128 v[36:39], v132 offset:1728
	;; [unrolled: 1-line block ×12, first 2 shown]
.LBB0_5:
	s_or_b64 exec, exec, s[0:1]
	s_waitcnt lgkmcnt(0)
	v_add_f64 v[20:21], v[34:35], -v[78:79]
	s_mov_b32 s0, 0xe00740e9
	s_mov_b32 s21, 0xbfddbe06
	;; [unrolled: 1-line block ×4, first 2 shown]
	v_add_f64 v[96:97], v[32:33], v[76:77]
	s_mov_b32 s1, 0x3fec55a7
	v_mul_f64 v[80:81], v[20:21], s[20:21]
	s_mov_b32 s6, 0x1ea71119
	s_mov_b32 s25, 0xbfea55e2
	v_add_f64 v[22:23], v[38:39], -v[74:75]
	v_fma_f64 v[0:1], s[0:1], v[96:97], v[80:81]
	s_mov_b32 s7, 0x3fe22d96
	v_add_f64 v[98:99], v[36:37], v[72:73]
	v_mul_f64 v[82:83], v[22:23], s[24:25]
	v_add_f64 v[24:25], v[32:33], -v[76:77]
	v_add_f64 v[0:1], v[28:29], v[0:1]
	v_fma_f64 v[2:3], s[6:7], v[98:99], v[82:83]
	v_add_f64 v[122:123], v[34:35], v[78:79]
	v_mul_f64 v[84:85], v[24:25], s[20:21]
	v_add_f64 v[26:27], v[36:37], -v[72:73]
	s_mov_b32 s28, 0x66966769
	v_add_f64 v[0:1], v[2:3], v[0:1]
	v_fma_f64 v[2:3], v[122:123], s[0:1], -v[84:85]
	v_add_f64 v[102:103], v[38:39], v[74:75]
	v_mul_f64 v[86:87], v[26:27], s[24:25]
	s_mov_b32 s14, 0xebaa3ed8
	s_mov_b32 s29, 0xbfefc445
	v_add_f64 v[182:183], v[42:43], -v[70:71]
	v_add_f64 v[2:3], v[30:31], v[2:3]
	v_fma_f64 v[4:5], v[102:103], s[6:7], -v[86:87]
	s_mov_b32 s15, 0x3fbedb7d
	v_add_f64 v[106:107], v[40:41], v[68:69]
	v_mul_f64 v[88:89], v[182:183], s[28:29]
	v_add_f64 v[184:185], v[40:41], -v[68:69]
	s_mov_b32 s26, 0x2ef20147
	v_add_f64 v[2:3], v[4:5], v[2:3]
	v_fma_f64 v[4:5], s[14:15], v[106:107], v[88:89]
	v_add_f64 v[108:109], v[42:43], v[70:71]
	v_mul_f64 v[90:91], v[184:185], s[28:29]
	s_mov_b32 s16, 0xb2365da1
	s_mov_b32 s27, 0xbfedeba7
	v_add_f64 v[196:197], v[46:47], -v[66:67]
	v_add_f64 v[0:1], v[4:5], v[0:1]
	v_fma_f64 v[4:5], v[108:109], s[14:15], -v[90:91]
	s_mov_b32 s17, 0xbfd6b1d8
	v_add_f64 v[112:113], v[44:45], v[64:65]
	v_mul_f64 v[92:93], v[196:197], s[26:27]
	v_add_f64 v[200:201], v[44:45], -v[64:65]
	s_mov_b32 s30, 0x24c2f84
	v_add_f64 v[2:3], v[4:5], v[2:3]
	v_fma_f64 v[4:5], s[16:17], v[112:113], v[92:93]
	;; [unrolled: 14-line block ×3, first 2 shown]
	v_add_f64 v[128:129], v[50:51], v[62:63]
	v_mul_f64 v[104:105], v[240:241], s[30:31]
	s_mov_b32 s35, 0xbfcea1e5
	s_mov_b32 s22, 0x93053d00
	v_add_f64 v[242:243], v[54:55], -v[58:59]
	v_add_f64 v[0:1], v[4:5], v[0:1]
	v_fma_f64 v[4:5], v[128:129], s[18:19], -v[104:105]
	s_mov_b32 s23, 0xbfef11f4
	v_add_f64 v[150:151], v[52:53], v[56:57]
	v_mul_f64 v[110:111], v[242:243], s[34:35]
	v_add_f64 v[244:245], v[52:53], -v[56:57]
	v_add_f64 v[2:3], v[4:5], v[2:3]
	v_fma_f64 v[4:5], s[22:23], v[150:151], v[110:111]
	v_add_f64 v[154:155], v[54:55], v[58:59]
	v_mul_f64 v[116:117], v[244:245], s[34:35]
	v_add_f64 v[0:1], v[4:5], v[0:1]
	v_fma_f64 v[4:5], v[154:155], s[22:23], -v[116:117]
	v_mul_f64 v[118:119], v[20:21], s[24:25]
	v_add_f64 v[2:3], v[4:5], v[2:3]
	v_fma_f64 v[4:5], s[6:7], v[96:97], v[118:119]
	v_mul_f64 v[120:121], v[22:23], s[26:27]
	v_add_f64 v[4:5], v[28:29], v[4:5]
	v_fma_f64 v[6:7], s[16:17], v[98:99], v[120:121]
	v_mul_f64 v[130:131], v[24:25], s[24:25]
	v_add_f64 v[4:5], v[6:7], v[4:5]
	v_fma_f64 v[6:7], v[122:123], s[6:7], -v[130:131]
	v_mul_f64 v[140:141], v[26:27], s[26:27]
	v_add_f64 v[6:7], v[30:31], v[6:7]
	v_fma_f64 v[8:9], v[102:103], s[16:17], -v[140:141]
	v_mul_f64 v[126:127], v[182:183], s[34:35]
	v_add_f64 v[6:7], v[8:9], v[6:7]
	v_fma_f64 v[8:9], s[22:23], v[106:107], v[126:127]
	v_mul_f64 v[142:143], v[184:185], s[34:35]
	s_mov_b32 s39, 0x3fe5384d
	s_mov_b32 s38, s30
	v_add_f64 v[4:5], v[8:9], v[4:5]
	v_fma_f64 v[8:9], v[108:109], s[22:23], -v[142:143]
	v_mul_f64 v[138:139], v[196:197], s[38:39]
	v_add_f64 v[6:7], v[8:9], v[6:7]
	v_fma_f64 v[8:9], s[18:19], v[112:113], v[138:139]
	v_mul_f64 v[146:147], v[200:201], s[38:39]
	s_mov_b32 s37, 0x3fefc445
	s_mov_b32 s36, s28
	v_add_f64 v[4:5], v[8:9], v[4:5]
	v_fma_f64 v[8:9], v[114:115], s[18:19], -v[146:147]
	v_mul_f64 v[144:145], v[238:239], s[36:37]
	v_add_f64 v[6:7], v[8:9], v[6:7]
	v_fma_f64 v[8:9], s[14:15], v[124:125], v[144:145]
	v_mul_f64 v[152:153], v[240:241], s[36:37]
	s_mov_b32 s21, 0x3fddbe06
	v_add_f64 v[4:5], v[8:9], v[4:5]
	v_fma_f64 v[8:9], v[128:129], s[14:15], -v[152:153]
	v_mul_f64 v[148:149], v[242:243], s[20:21]
	v_add_f64 v[6:7], v[8:9], v[6:7]
	v_fma_f64 v[8:9], s[0:1], v[150:151], v[148:149]
	v_mul_f64 v[156:157], v[244:245], s[20:21]
	v_add_f64 v[4:5], v[8:9], v[4:5]
	v_fma_f64 v[8:9], v[154:155], s[0:1], -v[156:157]
	v_mul_f64 v[158:159], v[20:21], s[28:29]
	v_add_f64 v[6:7], v[8:9], v[6:7]
	v_fma_f64 v[8:9], s[14:15], v[96:97], v[158:159]
	v_mul_f64 v[160:161], v[22:23], s[34:35]
	v_add_f64 v[8:9], v[28:29], v[8:9]
	v_fma_f64 v[10:11], s[22:23], v[98:99], v[160:161]
	v_mul_f64 v[164:165], v[24:25], s[28:29]
	v_add_f64 v[8:9], v[10:11], v[8:9]
	v_fma_f64 v[10:11], v[122:123], s[14:15], -v[164:165]
	v_mul_f64 v[168:169], v[26:27], s[34:35]
	s_mov_b32 s41, 0x3fedeba7
	s_mov_b32 s40, s26
	v_add_f64 v[10:11], v[30:31], v[10:11]
	v_fma_f64 v[12:13], v[102:103], s[22:23], -v[168:169]
	v_mul_f64 v[162:163], v[182:183], s[40:41]
	v_add_f64 v[10:11], v[12:13], v[10:11]
	v_fma_f64 v[12:13], s[16:17], v[106:107], v[162:163]
	v_mul_f64 v[172:173], v[184:185], s[40:41]
	v_add_f64 v[8:9], v[12:13], v[8:9]
	v_fma_f64 v[12:13], v[108:109], s[16:17], -v[172:173]
	v_mul_f64 v[166:167], v[196:197], s[20:21]
	v_add_f64 v[10:11], v[12:13], v[10:11]
	v_fma_f64 v[12:13], s[0:1], v[112:113], v[166:167]
	v_mul_f64 v[176:177], v[200:201], s[20:21]
	;; [unrolled: 6-line block ×5, first 2 shown]
	v_add_f64 v[12:13], v[28:29], v[12:13]
	v_fma_f64 v[14:15], s[18:19], v[98:99], v[188:189]
	v_mul_f64 v[198:199], v[24:25], s[26:27]
	v_add_f64 v[12:13], v[14:15], v[12:13]
	v_fma_f64 v[14:15], v[122:123], s[16:17], -v[198:199]
	v_mul_f64 v[202:203], v[26:27], s[38:39]
	v_add_f64 v[14:15], v[30:31], v[14:15]
	v_fma_f64 v[16:17], v[102:103], s[18:19], -v[202:203]
	v_mul_f64 v[190:191], v[182:183], s[20:21]
	v_add_f64 v[14:15], v[16:17], v[14:15]
	v_fma_f64 v[16:17], s[0:1], v[106:107], v[190:191]
	v_mul_f64 v[206:207], v[184:185], s[20:21]
	v_add_f64 v[12:13], v[16:17], v[12:13]
	v_fma_f64 v[16:17], v[108:109], s[0:1], -v[206:207]
	v_mul_f64 v[192:193], v[196:197], s[28:29]
	v_add_f64 v[14:15], v[16:17], v[14:15]
	v_fma_f64 v[16:17], s[14:15], v[112:113], v[192:193]
	v_mul_f64 v[208:209], v[200:201], s[28:29]
	s_mov_b32 s29, 0x3fcea1e5
	s_mov_b32 s28, s34
	v_add_f64 v[12:13], v[16:17], v[12:13]
	v_fma_f64 v[16:17], v[114:115], s[14:15], -v[208:209]
	v_mul_f64 v[194:195], v[238:239], s[28:29]
	v_add_f64 v[14:15], v[16:17], v[14:15]
	v_fma_f64 v[16:17], s[22:23], v[124:125], v[194:195]
	v_mul_f64 v[210:211], v[240:241], s[28:29]
	s_mov_b32 s39, 0x3fea55e2
	s_mov_b32 s38, s24
	v_add_f64 v[12:13], v[16:17], v[12:13]
	v_fma_f64 v[16:17], v[128:129], s[22:23], -v[210:211]
	v_mul_f64 v[204:205], v[242:243], s[38:39]
	v_add_f64 v[14:15], v[16:17], v[14:15]
	v_fma_f64 v[16:17], s[6:7], v[150:151], v[204:205]
	v_mul_f64 v[212:213], v[244:245], s[38:39]
	v_add_f64 v[12:13], v[16:17], v[12:13]
	v_fma_f64 v[16:17], v[154:155], s[6:7], -v[212:213]
	v_mul_f64 v[214:215], v[20:21], s[30:31]
	v_add_f64 v[14:15], v[16:17], v[14:15]
	v_fma_f64 v[16:17], s[18:19], v[96:97], v[214:215]
	v_mul_f64 v[216:217], v[22:23], s[36:37]
	v_add_f64 v[16:17], v[28:29], v[16:17]
	v_fma_f64 v[18:19], s[14:15], v[98:99], v[216:217]
	v_mul_f64 v[224:225], v[24:25], s[30:31]
	v_add_f64 v[16:17], v[18:19], v[16:17]
	v_fma_f64 v[18:19], v[122:123], s[18:19], -v[224:225]
	v_mul_f64 v[228:229], v[26:27], s[36:37]
	v_add_f64 v[18:19], v[30:31], v[18:19]
	v_fma_f64 v[218:219], v[102:103], s[14:15], -v[228:229]
	v_add_f64 v[18:19], v[218:219], v[18:19]
	v_mul_f64 v[218:219], v[182:183], s[24:25]
	v_fma_f64 v[220:221], s[6:7], v[106:107], v[218:219]
	v_mul_f64 v[230:231], v[184:185], s[24:25]
	v_add_f64 v[16:17], v[220:221], v[16:17]
	v_fma_f64 v[220:221], v[108:109], s[6:7], -v[230:231]
	v_add_f64 v[18:19], v[220:221], v[18:19]
	v_mul_f64 v[220:221], v[196:197], s[28:29]
	v_fma_f64 v[222:223], s[22:23], v[112:113], v[220:221]
	;; [unrolled: 6-line block ×4, first 2 shown]
	v_add_f64 v[16:17], v[236:237], v[16:17]
	v_mul_f64 v[236:237], v[244:245], s[26:27]
	v_fma_f64 v[246:247], v[154:155], s[16:17], -v[236:237]
	v_add_f64 v[18:19], v[246:247], v[18:19]
	v_mul_f64 v[246:247], v[20:21], s[34:35]
	v_fma_f64 v[20:21], v[96:97], s[22:23], -v[246:247]
	v_mul_f64 v[248:249], v[22:23], s[20:21]
	v_add_f64 v[20:21], v[28:29], v[20:21]
	v_fma_f64 v[22:23], v[98:99], s[0:1], -v[248:249]
	v_mul_f64 v[24:25], v[24:25], s[34:35]
	v_add_f64 v[20:21], v[22:23], v[20:21]
	v_fma_f64 v[22:23], s[22:23], v[122:123], v[24:25]
	v_mul_f64 v[26:27], v[26:27], s[20:21]
	v_add_f64 v[22:23], v[30:31], v[22:23]
	v_fma_f64 v[250:251], s[0:1], v[102:103], v[26:27]
	v_mul_f64 v[182:183], v[182:183], s[30:31]
	v_add_f64 v[22:23], v[250:251], v[22:23]
	v_fma_f64 v[250:251], v[106:107], s[18:19], -v[182:183]
	v_mul_f64 v[184:185], v[184:185], s[30:31]
	v_add_f64 v[20:21], v[250:251], v[20:21]
	v_fma_f64 v[250:251], s[18:19], v[108:109], v[184:185]
	v_mul_f64 v[196:197], v[196:197], s[38:39]
	v_fmac_f64_e32 v[246:247], s[22:23], v[96:97]
	v_add_f64 v[22:23], v[250:251], v[22:23]
	v_fma_f64 v[250:251], v[112:113], s[6:7], -v[196:197]
	v_mul_f64 v[200:201], v[200:201], s[38:39]
	v_add_f64 v[246:247], v[28:29], v[246:247]
	v_fmac_f64_e32 v[248:249], s[0:1], v[98:99]
	v_fma_f64 v[24:25], v[122:123], s[22:23], -v[24:25]
	v_add_f64 v[20:21], v[250:251], v[20:21]
	v_fma_f64 v[250:251], s[6:7], v[114:115], v[200:201]
	v_mul_f64 v[238:239], v[238:239], s[26:27]
	v_add_f64 v[246:247], v[248:249], v[246:247]
	v_add_f64 v[24:25], v[30:31], v[24:25]
	v_fma_f64 v[26:27], v[102:103], s[0:1], -v[26:27]
	v_fmac_f64_e32 v[182:183], s[18:19], v[106:107]
	v_add_f64 v[22:23], v[250:251], v[22:23]
	v_fma_f64 v[250:251], v[124:125], s[16:17], -v[238:239]
	v_mul_f64 v[240:241], v[240:241], s[26:27]
	v_add_f64 v[24:25], v[26:27], v[24:25]
	v_add_f64 v[26:27], v[182:183], v[246:247]
	v_fma_f64 v[182:183], v[108:109], s[18:19], -v[184:185]
	v_fmac_f64_e32 v[196:197], s[6:7], v[112:113]
	v_add_f64 v[20:21], v[250:251], v[20:21]
	v_fma_f64 v[250:251], s[16:17], v[128:129], v[240:241]
	v_mul_f64 v[242:243], v[242:243], s[36:37]
	v_add_f64 v[24:25], v[182:183], v[24:25]
	v_add_f64 v[26:27], v[196:197], v[26:27]
	v_fma_f64 v[182:183], v[114:115], s[6:7], -v[200:201]
	v_fmac_f64_e32 v[238:239], s[16:17], v[124:125]
	v_add_f64 v[22:23], v[250:251], v[22:23]
	v_fma_f64 v[250:251], v[150:151], s[14:15], -v[242:243]
	v_mul_f64 v[244:245], v[244:245], s[36:37]
	v_add_f64 v[24:25], v[182:183], v[24:25]
	v_add_f64 v[26:27], v[238:239], v[26:27]
	v_fma_f64 v[182:183], v[128:129], s[16:17], -v[240:241]
	v_fmac_f64_e32 v[242:243], s[14:15], v[150:151]
	v_add_f64 v[20:21], v[250:251], v[20:21]
	v_fma_f64 v[250:251], s[14:15], v[154:155], v[244:245]
	v_add_f64 v[182:183], v[182:183], v[24:25]
	v_add_f64 v[24:25], v[242:243], v[26:27]
	v_fma_f64 v[26:27], v[154:155], s[14:15], -v[244:245]
	v_add_f64 v[22:23], v[250:251], v[22:23]
	v_add_f64 v[26:27], v[26:27], v[182:183]
	v_mul_lo_u16_e32 v137, 13, v134
	s_barrier
	s_and_saveexec_b64 s[20:21], s[2:3]
	s_cbranch_execz .LBB0_7
; %bb.6:
	v_mul_f64 v[248:249], v[154:155], s[16:17]
	v_add_f64 v[236:237], v[236:237], v[248:249]
	v_mul_f64 v[248:249], v[128:129], s[0:1]
	v_add_f64 v[234:235], v[234:235], v[248:249]
	v_mul_f64 v[248:249], v[114:115], s[22:23]
	v_mul_f64 v[184:185], v[122:123], s[0:1]
	;; [unrolled: 1-line block ×6, first 2 shown]
	v_add_f64 v[232:233], v[232:233], v[248:249]
	v_mul_f64 v[248:249], v[108:109], s[6:7]
	v_add_f64 v[230:231], v[230:231], v[248:249]
	v_mul_f64 v[248:249], v[102:103], s[14:15]
	v_add_f64 v[122:123], v[224:225], v[122:123]
	v_add_f64 v[228:229], v[228:229], v[248:249]
	;; [unrolled: 1-line block ×7, first 2 shown]
	v_mul_f64 v[234:235], v[150:151], s[16:17]
	v_add_f64 v[226:227], v[234:235], -v[226:227]
	v_mul_f64 v[234:235], v[124:125], s[0:1]
	v_add_f64 v[222:223], v[234:235], -v[222:223]
	v_mul_f64 v[234:235], v[112:113], s[22:23]
	v_mul_f64 v[246:247], v[96:97], s[18:19]
	v_add_f64 v[220:221], v[234:235], -v[220:221]
	v_mul_f64 v[234:235], v[106:107], s[6:7]
	v_mul_f64 v[182:183], v[96:97], s[0:1]
	;; [unrolled: 1-line block ×8, first 2 shown]
	v_add_f64 v[218:219], v[234:235], -v[218:219]
	v_mul_f64 v[234:235], v[98:99], s[18:19]
	v_mul_f64 v[98:99], v[98:99], s[14:15]
	v_add_f64 v[214:215], v[246:247], -v[214:215]
	v_add_f64 v[98:99], v[98:99], -v[216:217]
	v_add_f64 v[214:215], v[28:29], v[214:215]
	v_add_f64 v[98:99], v[98:99], v[214:215]
	v_add_f64 v[98:99], v[218:219], v[98:99]
	v_add_f64 v[98:99], v[220:221], v[98:99]
	v_mul_f64 v[246:247], v[108:109], s[14:15]
	v_mul_f64 v[218:219], v[108:109], s[22:23]
	v_add_f64 v[98:99], v[222:223], v[98:99]
	v_mul_f64 v[222:223], v[108:109], s[16:17]
	v_mul_f64 v[252:253], v[108:109], s[0:1]
	v_add_f64 v[108:109], v[236:237], v[122:123]
	v_mul_f64 v[122:123], v[154:155], s[6:7]
	v_add_f64 v[122:123], v[212:213], v[122:123]
	v_mul_f64 v[212:213], v[128:129], s[22:23]
	v_mul_f64 v[248:249], v[102:103], s[6:7]
	;; [unrolled: 1-line block ×5, first 2 shown]
	v_add_f64 v[210:211], v[210:211], v[212:213]
	v_mul_f64 v[212:213], v[114:115], s[14:15]
	v_add_f64 v[198:199], v[198:199], v[244:245]
	v_add_f64 v[208:209], v[208:209], v[212:213]
	v_mul_f64 v[212:213], v[114:115], s[16:17]
	v_add_f64 v[102:103], v[202:203], v[102:103]
	v_mul_f64 v[202:203], v[114:115], s[18:19]
	v_mul_f64 v[244:245], v[114:115], s[0:1]
	v_add_f64 v[114:115], v[30:31], v[198:199]
	v_add_f64 v[206:207], v[206:207], v[252:253]
	;; [unrolled: 1-line block ×5, first 2 shown]
	v_mul_f64 v[114:115], v[150:151], s[6:7]
	v_add_f64 v[102:103], v[210:211], v[102:103]
	v_add_f64 v[204:205], v[114:115], -v[204:205]
	v_mul_f64 v[114:115], v[124:125], s[22:23]
	v_add_f64 v[186:187], v[242:243], -v[186:187]
	v_mul_f64 v[250:251], v[106:107], s[0:1]
	v_add_f64 v[194:195], v[114:115], -v[194:195]
	v_add_f64 v[188:189], v[234:235], -v[188:189]
	v_add_f64 v[114:115], v[122:123], v[102:103]
	v_add_f64 v[102:103], v[28:29], v[186:187]
	v_mul_f64 v[216:217], v[106:107], s[14:15]
	v_mul_f64 v[214:215], v[106:107], s[22:23]
	;; [unrolled: 1-line block ×3, first 2 shown]
	v_add_f64 v[106:107], v[226:227], v[98:99]
	v_mul_f64 v[98:99], v[112:113], s[16:17]
	v_mul_f64 v[226:227], v[112:113], s[18:19]
	;; [unrolled: 1-line block ×10, first 2 shown]
	v_add_f64 v[128:129], v[250:251], -v[190:191]
	v_add_f64 v[102:103], v[188:189], v[102:103]
	v_add_f64 v[112:113], v[112:113], -v[192:193]
	v_add_f64 v[102:103], v[128:129], v[102:103]
	v_add_f64 v[102:103], v[112:113], v[102:103]
	v_mul_f64 v[190:191], v[154:155], s[22:23]
	v_mul_f64 v[242:243], v[154:155], s[0:1]
	;; [unrolled: 1-line block ×3, first 2 shown]
	v_add_f64 v[102:103], v[194:195], v[102:103]
	v_add_f64 v[164:165], v[164:165], v[240:241]
	v_add_f64 v[158:159], v[238:239], -v[158:159]
	v_add_f64 v[130:131], v[130:131], v[200:201]
	v_add_f64 v[118:119], v[196:197], -v[118:119]
	;; [unrolled: 2-line block ×3, first 2 shown]
	v_add_f64 v[112:113], v[204:205], v[102:103]
	v_add_f64 v[102:103], v[180:181], v[154:155]
	;; [unrolled: 1-line block ×23, first 2 shown]
	v_mul_f64 v[192:193], v[150:151], s[22:23]
	v_mul_f64 v[234:235], v[150:151], s[0:1]
	;; [unrolled: 1-line block ×3, first 2 shown]
	v_add_f64 v[122:123], v[122:123], v[124:125]
	v_add_f64 v[154:155], v[230:231], -v[160:161]
	v_add_f64 v[30:31], v[30:31], v[50:51]
	v_add_f64 v[28:29], v[28:29], v[48:49]
	;; [unrolled: 1-line block ×3, first 2 shown]
	v_add_f64 v[102:103], v[150:151], -v[174:175]
	v_add_f64 v[150:151], v[220:221], -v[162:163]
	v_add_f64 v[154:155], v[154:155], v[158:159]
	v_add_f64 v[140:141], v[140:141], v[228:229]
	;; [unrolled: 1-line block ×4, first 2 shown]
	v_add_f64 v[128:129], v[236:237], -v[166:167]
	v_add_f64 v[150:151], v[150:151], v[154:155]
	v_add_f64 v[142:143], v[142:143], v[218:219]
	;; [unrolled: 1-line block ×3, first 2 shown]
	v_add_f64 v[120:121], v[224:225], -v[120:121]
	v_add_f64 v[30:31], v[30:31], v[58:59]
	v_add_f64 v[28:29], v[28:29], v[56:57]
	v_add_f64 v[122:123], v[252:253], -v[170:171]
	v_add_f64 v[128:129], v[128:129], v[150:151]
	v_add_f64 v[146:147], v[146:147], v[202:203]
	;; [unrolled: 1-line block ×3, first 2 shown]
	v_add_f64 v[126:127], v[214:215], -v[126:127]
	v_add_f64 v[118:119], v[120:121], v[118:119]
	v_add_f64 v[86:87], v[86:87], v[248:249]
	v_add_f64 v[82:83], v[96:97], -v[82:83]
	v_add_f64 v[30:31], v[30:31], v[62:63]
	v_add_f64 v[28:29], v[28:29], v[60:61]
	;; [unrolled: 1-line block ×5, first 2 shown]
	v_add_f64 v[138:139], v[226:227], -v[138:139]
	v_add_f64 v[118:119], v[126:127], v[118:119]
	v_add_f64 v[90:91], v[90:91], v[246:247]
	v_add_f64 v[84:85], v[86:87], v[84:85]
	v_add_f64 v[88:89], v[216:217], -v[88:89]
	v_add_f64 v[80:81], v[82:83], v[80:81]
	v_add_f64 v[30:31], v[30:31], v[66:67]
	v_add_f64 v[28:29], v[28:29], v[64:65]
	v_add_f64 v[122:123], v[102:103], v[122:123]
	v_add_f64 v[102:103], v[156:157], v[242:243]
	v_add_f64 v[128:129], v[128:129], v[130:131]
	v_add_f64 v[130:131], v[208:209], -v[144:145]
	v_add_f64 v[118:119], v[138:139], v[118:119]
	v_add_f64 v[94:95], v[94:95], v[212:213]
	;; [unrolled: 1-line block ×3, first 2 shown]
	v_add_f64 v[92:93], v[98:99], -v[92:93]
	v_add_f64 v[80:81], v[88:89], v[80:81]
	v_add_f64 v[30:31], v[30:31], v[70:71]
	;; [unrolled: 1-line block ×4, first 2 shown]
	v_add_f64 v[102:103], v[234:235], -v[148:149]
	v_add_f64 v[118:119], v[130:131], v[118:119]
	v_add_f64 v[104:105], v[104:105], v[206:207]
	;; [unrolled: 1-line block ×3, first 2 shown]
	v_add_f64 v[90:91], v[198:199], -v[100:101]
	v_add_f64 v[80:81], v[92:93], v[80:81]
	v_add_f64 v[30:31], v[30:31], v[74:75]
	;; [unrolled: 1-line block ×6, first 2 shown]
	v_add_f64 v[86:87], v[192:193], -v[110:111]
	v_add_f64 v[80:81], v[90:91], v[80:81]
	v_add_f64 v[30:31], v[30:31], v[78:79]
	;; [unrolled: 1-line block ×3, first 2 shown]
	v_lshlrev_b32_e32 v32, 4, v137
	v_add_f64 v[84:85], v[102:103], v[84:85]
	v_add_f64 v[82:83], v[86:87], v[80:81]
	ds_write_b128 v32, v[28:31]
	ds_write_b128 v32, v[82:85] offset:16
	ds_write_b128 v32, v[126:129] offset:32
	;; [unrolled: 1-line block ×12, first 2 shown]
.LBB0_7:
	s_or_b64 exec, exec, s[20:21]
	s_movk_i32 s14, 0x4f
	v_mul_lo_u16_sdwa v28, v134, s14 dst_sel:DWORD dst_unused:UNUSED_PAD src0_sel:BYTE_0 src1_sel:DWORD
	v_lshrrev_b16_e32 v68, 10, v28
	v_mul_lo_u16_e32 v28, 13, v68
	v_sub_u16_e32 v28, v134, v28
	s_mov_b64 s[0:1], 0x75
	v_and_b32_e32 v69, 0xff, v28
	v_lshlrev_b32_e32 v36, 5, v69
	v_lshl_add_u64 v[72:73], v[134:135], 0, s[0:1]
	s_load_dwordx4 s[4:7], s[4:5], 0x0
	s_waitcnt lgkmcnt(0)
	s_barrier
	global_load_dwordx4 v[28:31], v36, s[10:11] offset:16
	global_load_dwordx4 v[32:35], v36, s[10:11]
	v_mul_lo_u16_sdwa v36, v72, s14 dst_sel:DWORD dst_unused:UNUSED_PAD src0_sel:BYTE_0 src1_sel:DWORD
	v_lshrrev_b16_e32 v70, 10, v36
	v_mul_lo_u16_e32 v36, 13, v70
	v_sub_u16_e32 v36, v72, v36
	v_and_b32_e32 v71, 0xff, v36
	v_lshlrev_b32_e32 v44, 5, v71
	global_load_dwordx4 v[40:43], v44, s[10:11]
	global_load_dwordx4 v[36:39], v44, s[10:11] offset:16
	v_mov_b32_e32 v44, 4
	v_lshlrev_b32_sdwa v135, v44, v134 dst_sel:DWORD dst_unused:UNUSED_PAD src0_sel:DWORD src1_sel:WORD_0
	ds_read_b128 v[44:47], v135
	ds_read_b128 v[48:51], v135 offset:1872
	ds_read_b128 v[52:55], v135 offset:3744
	ds_read_b128 v[56:59], v135 offset:5616
	ds_read_b128 v[60:63], v135 offset:7488
	ds_read_b128 v[64:67], v135 offset:9360
	v_mul_u32_u24_e32 v68, 39, v68
	v_mul_u32_u24_e32 v70, 39, v70
	v_add_lshl_u32 v187, v68, v69, 4
	v_add_lshl_u32 v186, v70, v71, 4
	s_mov_b32 s0, 0xe8584caa
	s_mov_b32 s1, 0x3febb67a
	;; [unrolled: 1-line block ×4, first 2 shown]
	s_movk_i32 s16, 0xa5
	s_waitcnt lgkmcnt(0)
	s_barrier
	s_waitcnt vmcnt(3)
	v_mul_f64 v[74:75], v[62:63], v[30:31]
	s_waitcnt vmcnt(2)
	v_mul_f64 v[68:69], v[54:55], v[34:35]
	v_mul_f64 v[70:71], v[52:53], v[34:35]
	;; [unrolled: 1-line block ×3, first 2 shown]
	v_fma_f64 v[52:53], v[52:53], v[32:33], -v[68:69]
	v_fmac_f64_e32 v[70:71], v[54:55], v[32:33]
	v_fma_f64 v[54:55], v[60:61], v[28:29], -v[74:75]
	v_fmac_f64_e32 v[76:77], v[62:63], v[28:29]
	s_waitcnt vmcnt(1)
	v_mul_f64 v[60:61], v[58:59], v[42:43]
	v_mul_f64 v[62:63], v[56:57], v[42:43]
	s_waitcnt vmcnt(0)
	v_mul_f64 v[68:69], v[66:67], v[38:39]
	v_mul_f64 v[74:75], v[64:65], v[38:39]
	v_fma_f64 v[56:57], v[56:57], v[40:41], -v[60:61]
	v_fmac_f64_e32 v[62:63], v[58:59], v[40:41]
	v_fma_f64 v[60:61], v[64:65], v[36:37], -v[68:69]
	v_fmac_f64_e32 v[74:75], v[66:67], v[36:37]
	v_add_f64 v[58:59], v[44:45], v[52:53]
	v_add_f64 v[64:65], v[52:53], v[54:55]
	v_add_f64 v[66:67], v[70:71], -v[76:77]
	v_add_f64 v[68:69], v[46:47], v[70:71]
	v_add_f64 v[70:71], v[70:71], v[76:77]
	v_add_f64 v[78:79], v[52:53], -v[54:55]
	v_add_f64 v[52:53], v[58:59], v[54:55]
	v_fmac_f64_e32 v[44:45], -0.5, v[64:65]
	v_add_f64 v[54:55], v[68:69], v[76:77]
	v_fmac_f64_e32 v[46:47], -0.5, v[70:71]
	v_add_f64 v[68:69], v[56:57], v[60:61]
	v_add_f64 v[80:81], v[62:63], v[74:75]
	;; [unrolled: 1-line block ×3, first 2 shown]
	v_add_f64 v[70:71], v[62:63], -v[74:75]
	v_add_f64 v[76:77], v[50:51], v[62:63]
	v_add_f64 v[82:83], v[56:57], -v[60:61]
	v_fma_f64 v[56:57], s[0:1], v[66:67], v[44:45]
	v_fmac_f64_e32 v[44:45], s[14:15], v[66:67]
	v_fma_f64 v[58:59], s[14:15], v[78:79], v[46:47]
	v_fmac_f64_e32 v[48:49], -0.5, v[68:69]
	v_fmac_f64_e32 v[50:51], -0.5, v[80:81]
	v_fmac_f64_e32 v[46:47], s[0:1], v[78:79]
	v_add_f64 v[60:61], v[64:65], v[60:61]
	v_add_f64 v[62:63], v[76:77], v[74:75]
	ds_write_b128 v187, v[52:55]
	v_fma_f64 v[52:53], s[0:1], v[70:71], v[48:49]
	v_fmac_f64_e32 v[48:49], s[14:15], v[70:71]
	v_fma_f64 v[54:55], s[14:15], v[82:83], v[50:51]
	v_fmac_f64_e32 v[50:51], s[0:1], v[82:83]
	ds_write_b128 v187, v[56:59] offset:208
	ds_write_b128 v187, v[44:47] offset:416
	ds_write_b128 v186, v[60:63]
	ds_write_b128 v186, v[52:55] offset:208
	ds_write_b128 v186, v[48:51] offset:416
	v_mul_lo_u16_sdwa v44, v134, s16 dst_sel:DWORD dst_unused:UNUSED_PAD src0_sel:BYTE_0 src1_sel:DWORD
	v_sub_u16_sdwa v45, v134, v44 dst_sel:DWORD dst_unused:UNUSED_PAD src0_sel:DWORD src1_sel:BYTE_1
	v_lshrrev_b16_e32 v45, 1, v45
	v_and_b32_e32 v45, 0x7f, v45
	v_add_u16_sdwa v44, v45, v44 dst_sel:DWORD dst_unused:UNUSED_PAD src0_sel:DWORD src1_sel:BYTE_1
	v_lshrrev_b16_e32 v44, 5, v44
	v_and_b32_e32 v73, 7, v44
	v_mul_lo_u16_e32 v44, 39, v73
	v_sub_u16_e32 v44, v134, v44
	v_and_b32_e32 v110, 0xff, v44
	s_movk_i32 s16, 0x50
	v_mov_b64_e32 v[44:45], s[10:11]
	v_mad_u64_u32 v[64:65], s[16:17], v110, s16, v[44:45]
	s_waitcnt lgkmcnt(0)
	s_barrier
	global_load_dwordx4 v[56:59], v[64:65], off offset:416
	global_load_dwordx4 v[52:55], v[64:65], off offset:432
	global_load_dwordx4 v[48:51], v[64:65], off offset:448
	global_load_dwordx4 v[44:47], v[64:65], off offset:464
	global_load_dwordx4 v[60:63], v[64:65], off offset:480
	ds_read_b128 v[64:67], v135
	ds_read_b128 v[68:71], v135 offset:1872
	ds_read_b128 v[74:77], v135 offset:3744
	;; [unrolled: 1-line block ×5, first 2 shown]
	s_movk_i32 s16, 0xea
	v_mul_u32_u24_sdwa v73, v73, s16 dst_sel:DWORD dst_unused:UNUSED_PAD src0_sel:WORD_0 src1_sel:DWORD
	v_add_lshl_u32 v188, v73, v110, 4
	s_waitcnt lgkmcnt(0)
	s_barrier
	v_lshlrev_b32_e32 v73, 5, v134
	s_waitcnt vmcnt(4)
	v_mul_f64 v[92:93], v[68:69], v[58:59]
	s_waitcnt vmcnt(3)
	v_mul_f64 v[96:97], v[74:75], v[54:55]
	;; [unrolled: 2-line block ×3, first 2 shown]
	v_mul_f64 v[90:91], v[70:71], v[58:59]
	s_waitcnt vmcnt(0)
	v_mul_f64 v[106:107], v[88:89], v[62:63]
	v_mul_f64 v[94:95], v[76:77], v[54:55]
	;; [unrolled: 1-line block ×5, first 2 shown]
	v_fmac_f64_e32 v[92:93], v[70:71], v[56:57]
	v_fmac_f64_e32 v[96:97], v[76:77], v[52:53]
	v_fma_f64 v[70:71], v[78:79], v[48:49], -v[98:99]
	v_fma_f64 v[76:77], v[86:87], v[60:61], -v[106:107]
	v_mul_f64 v[102:103], v[84:85], v[46:47]
	v_fma_f64 v[90:91], v[68:69], v[56:57], -v[90:91]
	v_fma_f64 v[68:69], v[74:75], v[52:53], -v[94:95]
	v_fmac_f64_e32 v[100:101], v[80:81], v[48:49]
	v_fmac_f64_e32 v[104:105], v[84:85], v[44:45]
	;; [unrolled: 1-line block ×3, first 2 shown]
	v_add_f64 v[94:95], v[70:71], v[76:77]
	v_fma_f64 v[74:75], v[82:83], v[44:45], -v[102:103]
	v_add_f64 v[78:79], v[64:65], v[68:69]
	v_add_f64 v[82:83], v[96:97], -v[104:105]
	v_add_f64 v[84:85], v[66:67], v[96:97]
	v_add_f64 v[86:87], v[96:97], v[104:105]
	;; [unrolled: 1-line block ×3, first 2 shown]
	v_add_f64 v[96:97], v[100:101], -v[108:109]
	v_add_f64 v[98:99], v[92:93], v[100:101]
	v_add_f64 v[100:101], v[100:101], v[108:109]
	v_fmac_f64_e32 v[90:91], -0.5, v[94:95]
	v_add_f64 v[80:81], v[68:69], v[74:75]
	v_add_f64 v[68:69], v[68:69], -v[74:75]
	v_add_f64 v[70:71], v[70:71], -v[76:77]
	v_add_f64 v[102:103], v[78:79], v[74:75]
	v_fmac_f64_e32 v[92:93], -0.5, v[100:101]
	v_fma_f64 v[74:75], s[0:1], v[96:97], v[90:91]
	v_fmac_f64_e32 v[90:91], s[14:15], v[96:97]
	v_fmac_f64_e32 v[66:67], -0.5, v[86:87]
	v_add_f64 v[86:87], v[88:89], v[76:77]
	v_fma_f64 v[76:77], s[14:15], v[70:71], v[92:93]
	v_fmac_f64_e32 v[92:93], s[0:1], v[70:71]
	v_mul_f64 v[100:101], v[90:91], -0.5
	v_fmac_f64_e32 v[100:101], s[0:1], v[92:93]
	v_mul_f64 v[92:93], v[92:93], -0.5
	v_fmac_f64_e32 v[64:65], -0.5, v[80:81]
	v_add_f64 v[84:85], v[84:85], v[104:105]
	v_add_f64 v[88:89], v[98:99], v[108:109]
	v_fma_f64 v[98:99], s[14:15], v[68:69], v[66:67]
	v_fmac_f64_e32 v[66:67], s[0:1], v[68:69]
	v_mul_f64 v[96:97], v[76:77], s[0:1]
	v_mul_f64 v[104:105], v[74:75], s[14:15]
	v_fmac_f64_e32 v[92:93], s[14:15], v[90:91]
	v_fma_f64 v[94:95], s[0:1], v[82:83], v[64:65]
	v_fmac_f64_e32 v[64:65], s[14:15], v[82:83]
	v_add_f64 v[68:69], v[102:103], v[86:87]
	v_add_f64 v[70:71], v[84:85], v[88:89]
	v_fmac_f64_e32 v[96:97], 0.5, v[74:75]
	v_fmac_f64_e32 v[104:105], 0.5, v[76:77]
	v_add_f64 v[80:81], v[66:67], v[92:93]
	v_add_f64 v[74:75], v[94:95], v[96:97]
	;; [unrolled: 1-line block ×4, first 2 shown]
	v_add_f64 v[82:83], v[102:103], -v[86:87]
	v_add_f64 v[86:87], v[94:95], -v[96:97]
	;; [unrolled: 1-line block ×6, first 2 shown]
	ds_write_b128 v188, v[68:71]
	ds_write_b128 v188, v[74:77] offset:624
	ds_write_b128 v188, v[78:81] offset:1248
	;; [unrolled: 1-line block ×5, first 2 shown]
	v_lshlrev_b32_e32 v80, 5, v72
	s_waitcnt lgkmcnt(0)
	s_barrier
	global_load_dwordx4 v[68:71], v73, s[10:11] offset:3536
	global_load_dwordx4 v[64:67], v73, s[10:11] offset:3552
	;; [unrolled: 1-line block ×3, first 2 shown]
	s_nop 0
	global_load_dwordx4 v[72:75], v80, s[10:11] offset:3552
	ds_read_b128 v[88:91], v135 offset:3744
	ds_read_b128 v[92:95], v135 offset:7488
	ds_read_b128 v[80:83], v135
	ds_read_b128 v[84:87], v135 offset:1872
	ds_read_b128 v[96:99], v135 offset:5616
	;; [unrolled: 1-line block ×3, first 2 shown]
	s_waitcnt vmcnt(3) lgkmcnt(5)
	v_mul_f64 v[104:105], v[90:91], v[70:71]
	v_mul_f64 v[106:107], v[88:89], v[70:71]
	s_waitcnt vmcnt(2) lgkmcnt(4)
	v_mul_f64 v[108:109], v[94:95], v[66:67]
	v_mul_f64 v[110:111], v[92:93], v[66:67]
	;; [unrolled: 3-line block ×4, first 2 shown]
	v_fma_f64 v[88:89], v[88:89], v[68:69], -v[104:105]
	v_fmac_f64_e32 v[106:107], v[90:91], v[68:69]
	v_fma_f64 v[90:91], v[92:93], v[64:65], -v[108:109]
	v_fmac_f64_e32 v[110:111], v[94:95], v[64:65]
	;; [unrolled: 2-line block ×4, first 2 shown]
	v_add_f64 v[98:99], v[88:89], v[90:91]
	v_add_f64 v[104:105], v[106:107], v[110:111]
	;; [unrolled: 1-line block ×3, first 2 shown]
	v_add_f64 v[116:117], v[114:115], -v[118:119]
	v_add_f64 v[120:121], v[86:87], v[114:115]
	v_add_f64 v[114:115], v[114:115], v[118:119]
	;; [unrolled: 1-line block ×3, first 2 shown]
	v_add_f64 v[100:101], v[106:107], -v[110:111]
	v_add_f64 v[102:103], v[82:83], v[106:107]
	v_add_f64 v[106:107], v[88:89], -v[90:91]
	v_add_f64 v[108:109], v[84:85], v[92:93]
	v_add_f64 v[122:123], v[92:93], -v[94:95]
	v_fmac_f64_e32 v[80:81], -0.5, v[98:99]
	v_fmac_f64_e32 v[82:83], -0.5, v[104:105]
	;; [unrolled: 1-line block ×4, first 2 shown]
	v_add_f64 v[88:89], v[96:97], v[90:91]
	v_add_f64 v[90:91], v[102:103], v[110:111]
	;; [unrolled: 1-line block ×4, first 2 shown]
	v_fma_f64 v[92:93], s[0:1], v[100:101], v[80:81]
	v_fmac_f64_e32 v[80:81], s[14:15], v[100:101]
	v_fma_f64 v[94:95], s[14:15], v[106:107], v[82:83]
	v_fmac_f64_e32 v[82:83], s[0:1], v[106:107]
	;; [unrolled: 2-line block ×4, first 2 shown]
	ds_write_b128 v135, v[88:91]
	ds_write_b128 v135, v[96:99] offset:1872
	ds_write_b128 v135, v[92:95] offset:3744
	ds_write_b128 v135, v[80:83] offset:7488
	ds_write_b128 v135, v[100:103] offset:5616
	ds_write_b128 v135, v[84:87] offset:9360
	s_waitcnt lgkmcnt(0)
	s_barrier
	s_and_saveexec_b64 s[0:1], s[2:3]
	s_cbranch_execz .LBB0_9
; %bb.8:
	v_mov_b32_e32 v133, 0
	v_lshl_add_u64 v[108:109], s[8:9], 0, v[132:133]
	v_add_co_u32_e32 v104, vcc, 0x2000, v108
	s_mov_b64 s[10:11], 0x2be0
	s_nop 0
	v_addc_co_u32_e32 v105, vcc, 0, v109, vcc
	global_load_dwordx4 v[104:107], v[104:105], off offset:3040
	s_movk_i32 s14, 0x3000
	v_lshl_add_u64 v[122:123], v[108:109], 0, s[10:11]
	global_load_dwordx4 v[110:113], v[122:123], off offset:864
	v_add_co_u32_e32 v126, vcc, s14, v108
	s_movk_i32 s15, 0x4000
	s_nop 0
	v_addc_co_u32_e32 v127, vcc, 0, v109, vcc
	global_load_dwordx4 v[114:117], v[122:123], off offset:1728
	global_load_dwordx4 v[118:121], v[122:123], off offset:2592
	s_nop 0
	global_load_dwordx4 v[122:125], v[122:123], off offset:3456
	s_nop 0
	global_load_dwordx4 v[126:129], v[126:127], off offset:3264
	v_add_co_u32_e32 v130, vcc, s15, v108
	s_movk_i32 s10, 0x5000
	s_nop 0
	v_addc_co_u32_e32 v131, vcc, 0, v109, vcc
	global_load_dwordx4 v[138:141], v[130:131], off offset:32
	global_load_dwordx4 v[142:145], v[130:131], off offset:896
	;; [unrolled: 1-line block ×5, first 2 shown]
	v_add_co_u32_e32 v108, vcc, s10, v108
	s_nop 1
	v_addc_co_u32_e32 v109, vcc, 0, v109, vcc
	global_load_dwordx4 v[158:161], v[108:109], off offset:256
	global_load_dwordx4 v[162:165], v[108:109], off offset:1120
	ds_read_b128 v[166:169], v135
	s_waitcnt vmcnt(12) lgkmcnt(0)
	v_mul_f64 v[130:131], v[168:169], v[106:107]
	v_mul_f64 v[108:109], v[166:167], v[106:107]
	v_fma_f64 v[106:107], v[166:167], v[104:105], -v[130:131]
	v_fmac_f64_e32 v[108:109], v[168:169], v[104:105]
	ds_write_b128 v135, v[106:109]
	ds_read_b128 v[104:107], v132 offset:864
	ds_read_b128 v[166:169], v132 offset:1728
	;; [unrolled: 1-line block ×10, first 2 shown]
	s_waitcnt vmcnt(11) lgkmcnt(9)
	v_mul_f64 v[206:207], v[106:107], v[112:113]
	v_mul_f64 v[130:131], v[104:105], v[112:113]
	s_waitcnt vmcnt(10) lgkmcnt(8)
	v_mul_f64 v[208:209], v[168:169], v[116:117]
	v_mul_f64 v[108:109], v[166:167], v[116:117]
	;; [unrolled: 3-line block ×8, first 2 shown]
	v_fma_f64 v[128:129], v[104:105], v[110:111], -v[206:207]
	v_fmac_f64_e32 v[130:131], v[106:107], v[110:111]
	v_fma_f64 v[106:107], v[166:167], v[114:115], -v[208:209]
	s_waitcnt vmcnt(3) lgkmcnt(1)
	v_mul_f64 v[148:149], v[200:201], v[152:153]
	v_fmac_f64_e32 v[108:109], v[168:169], v[114:115]
	v_fma_f64 v[110:111], v[170:171], v[118:119], -v[210:211]
	v_fmac_f64_e32 v[112:113], v[172:173], v[118:119]
	v_fma_f64 v[114:115], v[174:175], v[122:123], -v[212:213]
	;; [unrolled: 2-line block ×6, first 2 shown]
	v_fmac_f64_e32 v[144:145], v[196:197], v[146:147]
	ds_write_b128 v132, v[128:131] offset:864
	ds_write_b128 v132, v[106:109] offset:1728
	;; [unrolled: 1-line block ×8, first 2 shown]
	v_mul_f64 v[106:107], v[198:199], v[152:153]
	v_fma_f64 v[104:105], v[198:199], v[150:151], -v[148:149]
	v_fmac_f64_e32 v[106:107], v[200:201], v[150:151]
	ds_write_b128 v132, v[104:107] offset:7776
	s_waitcnt vmcnt(2) lgkmcnt(9)
	v_mul_f64 v[104:105], v[204:205], v[156:157]
	v_mul_f64 v[106:107], v[202:203], v[156:157]
	v_fma_f64 v[104:105], v[202:203], v[154:155], -v[104:105]
	ds_read_b128 v[108:111], v132 offset:9504
	v_fmac_f64_e32 v[106:107], v[204:205], v[154:155]
	ds_write_b128 v132, v[104:107] offset:8640
	ds_read_b128 v[104:107], v132 offset:10368
	s_waitcnt vmcnt(1) lgkmcnt(2)
	v_mul_f64 v[112:113], v[110:111], v[160:161]
	v_mul_f64 v[114:115], v[108:109], v[160:161]
	v_fma_f64 v[112:113], v[108:109], v[158:159], -v[112:113]
	v_fmac_f64_e32 v[114:115], v[110:111], v[158:159]
	s_waitcnt vmcnt(0) lgkmcnt(0)
	v_mul_f64 v[108:109], v[106:107], v[164:165]
	v_mul_f64 v[110:111], v[104:105], v[164:165]
	v_fma_f64 v[108:109], v[104:105], v[162:163], -v[108:109]
	v_fmac_f64_e32 v[110:111], v[106:107], v[162:163]
	ds_write_b128 v132, v[112:115] offset:9504
	ds_write_b128 v132, v[108:111] offset:10368
.LBB0_9:
	s_or_b64 exec, exec, s[0:1]
	s_waitcnt lgkmcnt(0)
	s_barrier
	s_and_saveexec_b64 s[0:1], s[2:3]
	s_cbranch_execz .LBB0_11
; %bb.10:
	ds_read_b128 v[88:91], v135
	ds_read_b128 v[92:95], v135 offset:864
	ds_read_b128 v[80:83], v135 offset:1728
	;; [unrolled: 1-line block ×12, first 2 shown]
.LBB0_11:
	s_or_b64 exec, exec, s[0:1]
	s_waitcnt lgkmcnt(0)
	s_barrier
	s_and_saveexec_b64 s[0:1], s[2:3]
	s_cbranch_execz .LBB0_13
; %bb.12:
	s_mov_b32 s30, 0x4bc48dbf
	v_add_f64 v[172:173], v[92:93], -v[0:1]
	s_mov_b32 s31, 0xbfcea1e5
	s_mov_b32 s26, 0x93053d00
	;; [unrolled: 1-line block ×3, first 2 shown]
	v_add_f64 v[170:171], v[80:81], -v[4:5]
	s_mov_b32 s29, 0x3fddbe06
	s_mov_b32 s28, 0x4267c47c
	;; [unrolled: 1-line block ×3, first 2 shown]
	v_mul_f64 v[124:125], v[172:173], s[30:31]
	v_add_f64 v[154:155], v[94:95], v[2:3]
	s_mov_b32 s27, 0xbfef11f4
	v_add_f64 v[184:185], v[94:95], -v[2:3]
	s_mov_b32 s40, 0x42a4c3d2
	v_add_f64 v[160:161], v[96:97], -v[8:9]
	s_mov_b32 s25, 0xbfe5384d
	s_mov_b32 s20, 0xd0032e0c
	v_mul_f64 v[120:121], v[170:171], s[28:29]
	v_add_f64 v[150:151], v[82:83], v[6:7]
	s_mov_b32 s23, 0x3fec55a7
	v_fma_f64 v[126:127], s[26:27], v[154:155], v[124:125]
	v_add_f64 v[182:183], v[82:83], -v[6:7]
	v_add_f64 v[168:169], v[92:93], v[0:1]
	v_mul_f64 v[196:197], v[184:185], s[30:31]
	s_mov_b32 s18, 0x2ef20147
	v_add_f64 v[152:153], v[100:101], -v[12:13]
	s_mov_b32 s41, 0x3fea55e2
	s_mov_b32 s16, 0x1ea71119
	v_mul_f64 v[116:117], v[160:161], s[24:25]
	v_add_f64 v[146:147], v[98:99], v[10:11]
	s_mov_b32 s21, 0xbfe7f3cc
	v_fma_f64 v[122:123], s[22:23], v[150:151], v[120:121]
	v_add_f64 v[126:127], v[90:91], v[126:127]
	v_add_f64 v[180:181], v[98:99], -v[10:11]
	v_add_f64 v[166:167], v[80:81], v[4:5]
	v_mul_f64 v[192:193], v[182:183], s[28:29]
	v_fma_f64 v[198:199], v[168:169], s[26:27], -v[196:197]
	s_mov_b32 s34, 0x66966769
	v_add_f64 v[148:149], v[84:85], -v[16:17]
	s_mov_b32 s19, 0xbfedeba7
	s_mov_b32 s14, 0xb2365da1
	v_mul_f64 v[112:113], v[152:153], s[40:41]
	v_add_f64 v[142:143], v[102:103], v[14:15]
	s_mov_b32 s17, 0x3fe22d96
	v_fma_f64 v[118:119], s[20:21], v[146:147], v[116:117]
	v_add_f64 v[122:123], v[122:123], v[126:127]
	v_add_f64 v[178:179], v[102:103], -v[14:15]
	v_add_f64 v[164:165], v[96:97], v[8:9]
	v_mul_f64 v[130:131], v[180:181], s[24:25]
	v_fma_f64 v[194:195], v[166:167], s[22:23], -v[192:193]
	v_add_f64 v[198:199], v[88:89], v[198:199]
	v_add_f64 v[144:145], v[20:21], -v[24:25]
	s_mov_b32 s35, 0x3fefc445
	s_mov_b32 s10, 0xebaa3ed8
	v_mul_f64 v[110:111], v[148:149], s[18:19]
	v_add_f64 v[140:141], v[86:87], v[18:19]
	s_mov_b32 s15, 0xbfd6b1d8
	v_fma_f64 v[114:115], s[16:17], v[142:143], v[112:113]
	v_add_f64 v[118:119], v[118:119], v[122:123]
	v_add_f64 v[176:177], v[86:87], -v[18:19]
	v_add_f64 v[162:163], v[100:101], v[12:13]
	v_mul_f64 v[126:127], v[178:179], s[40:41]
	v_fma_f64 v[190:191], v[164:165], s[20:21], -v[130:131]
	v_add_f64 v[194:195], v[194:195], v[198:199]
	v_mul_f64 v[108:109], v[144:145], s[34:35]
	v_add_f64 v[138:139], v[22:23], v[26:27]
	s_mov_b32 s11, 0x3fbedb7d
	v_fma_f64 v[106:107], s[14:15], v[140:141], v[110:111]
	v_add_f64 v[114:115], v[114:115], v[118:119]
	v_add_f64 v[174:175], v[22:23], -v[26:27]
	v_add_f64 v[158:159], v[84:85], v[16:17]
	v_mul_f64 v[118:119], v[176:177], s[18:19]
	v_fma_f64 v[128:129], v[162:163], s[16:17], -v[126:127]
	v_add_f64 v[190:191], v[190:191], v[194:195]
	v_fma_f64 v[104:105], s[10:11], v[138:139], v[108:109]
	v_add_f64 v[106:107], v[106:107], v[114:115]
	v_add_f64 v[156:157], v[20:21], v[24:25]
	v_mul_f64 v[114:115], v[174:175], s[34:35]
	v_fma_f64 v[122:123], v[158:159], s[14:15], -v[118:119]
	v_add_f64 v[128:129], v[128:129], v[190:191]
	v_add_f64 v[106:107], v[104:105], v[106:107]
	v_fma_f64 v[104:105], v[156:157], s[10:11], -v[114:115]
	v_add_f64 v[122:123], v[122:123], v[128:129]
	v_add_f64 v[104:105], v[104:105], v[122:123]
	v_fma_f64 v[122:123], v[154:155], s[26:27], -v[124:125]
	v_fma_f64 v[120:121], v[150:151], s[22:23], -v[120:121]
	v_add_f64 v[122:123], v[90:91], v[122:123]
	v_fma_f64 v[116:117], v[146:147], s[20:21], -v[116:117]
	v_add_f64 v[120:121], v[120:121], v[122:123]
	;; [unrolled: 2-line block ×5, first 2 shown]
	v_fmac_f64_e32 v[196:197], s[26:27], v[168:169]
	v_add_f64 v[110:111], v[108:109], v[110:111]
	v_fmac_f64_e32 v[192:193], s[22:23], v[166:167]
	v_add_f64 v[108:109], v[88:89], v[196:197]
	v_mul_f64 v[190:191], v[172:173], s[24:25]
	v_fmac_f64_e32 v[130:131], s[20:21], v[164:165]
	v_add_f64 v[108:109], v[192:193], v[108:109]
	s_mov_b32 s37, 0xbfea55e2
	s_mov_b32 s36, s40
	v_mul_f64 v[128:129], v[170:171], s[34:35]
	v_fma_f64 v[192:193], s[20:21], v[154:155], v[190:191]
	v_mul_f64 v[204:205], v[184:185], s[24:25]
	v_fmac_f64_e32 v[126:127], s[16:17], v[162:163]
	v_add_f64 v[108:109], v[130:131], v[108:109]
	s_mov_b32 s45, 0x3fcea1e5
	s_mov_b32 s44, s30
	v_mul_f64 v[124:125], v[160:161], s[36:37]
	v_fma_f64 v[130:131], s[10:11], v[150:151], v[128:129]
	v_add_f64 v[192:193], v[90:91], v[192:193]
	v_mul_f64 v[200:201], v[182:183], s[34:35]
	v_fma_f64 v[206:207], v[168:169], s[20:21], -v[204:205]
	v_fmac_f64_e32 v[118:119], s[14:15], v[158:159]
	v_add_f64 v[108:109], v[126:127], v[108:109]
	v_mul_f64 v[120:121], v[152:153], s[44:45]
	v_fma_f64 v[126:127], s[16:17], v[146:147], v[124:125]
	v_add_f64 v[130:131], v[130:131], v[192:193]
	v_mul_f64 v[196:197], v[180:181], s[36:37]
	v_fma_f64 v[202:203], v[166:167], s[10:11], -v[200:201]
	v_add_f64 v[206:207], v[88:89], v[206:207]
	v_fmac_f64_e32 v[114:115], s[10:11], v[156:157]
	v_add_f64 v[108:109], v[118:119], v[108:109]
	v_mul_f64 v[118:119], v[148:149], s[28:29]
	v_fma_f64 v[122:123], s[26:27], v[142:143], v[120:121]
	v_add_f64 v[126:127], v[126:127], v[130:131]
	v_mul_f64 v[192:193], v[178:179], s[44:45]
	v_fma_f64 v[198:199], v[164:165], s[16:17], -v[196:197]
	v_add_f64 v[202:203], v[202:203], v[206:207]
	v_add_f64 v[108:109], v[114:115], v[108:109]
	v_mul_f64 v[116:117], v[144:145], s[18:19]
	v_fma_f64 v[114:115], s[22:23], v[140:141], v[118:119]
	v_add_f64 v[122:123], v[122:123], v[126:127]
	v_mul_f64 v[126:127], v[176:177], s[28:29]
	v_fma_f64 v[194:195], v[162:163], s[26:27], -v[192:193]
	v_add_f64 v[198:199], v[198:199], v[202:203]
	v_fma_f64 v[112:113], s[14:15], v[138:139], v[116:117]
	v_add_f64 v[114:115], v[114:115], v[122:123]
	v_mul_f64 v[122:123], v[174:175], s[18:19]
	v_fma_f64 v[130:131], v[158:159], s[22:23], -v[126:127]
	v_add_f64 v[194:195], v[194:195], v[198:199]
	v_add_f64 v[114:115], v[112:113], v[114:115]
	v_fma_f64 v[112:113], v[156:157], s[14:15], -v[122:123]
	v_add_f64 v[130:131], v[130:131], v[194:195]
	v_add_f64 v[112:113], v[112:113], v[130:131]
	v_fma_f64 v[130:131], v[154:155], s[20:21], -v[190:191]
	v_fma_f64 v[128:129], v[150:151], s[10:11], -v[128:129]
	v_add_f64 v[130:131], v[90:91], v[130:131]
	v_fma_f64 v[124:125], v[146:147], s[16:17], -v[124:125]
	v_add_f64 v[128:129], v[128:129], v[130:131]
	;; [unrolled: 2-line block ×5, first 2 shown]
	v_fmac_f64_e32 v[204:205], s[20:21], v[168:169]
	v_add_f64 v[118:119], v[116:117], v[118:119]
	v_fmac_f64_e32 v[200:201], s[10:11], v[166:167]
	v_add_f64 v[116:117], v[88:89], v[204:205]
	s_mov_b32 s43, 0x3fe5384d
	s_mov_b32 s42, s24
	v_mul_f64 v[198:199], v[172:173], s[18:19]
	v_fmac_f64_e32 v[196:197], s[16:17], v[164:165]
	v_add_f64 v[116:117], v[200:201], v[116:117]
	v_mul_f64 v[194:195], v[170:171], s[42:43]
	v_fma_f64 v[200:201], s[14:15], v[154:155], v[198:199]
	v_mul_f64 v[212:213], v[184:185], s[18:19]
	v_fmac_f64_e32 v[192:193], s[26:27], v[162:163]
	v_add_f64 v[116:117], v[196:197], v[116:117]
	s_mov_b32 s39, 0xbfefc445
	s_mov_b32 s38, s34
	v_mul_f64 v[190:191], v[160:161], s[28:29]
	v_fma_f64 v[196:197], s[20:21], v[150:151], v[194:195]
	v_add_f64 v[200:201], v[90:91], v[200:201]
	v_mul_f64 v[208:209], v[182:183], s[42:43]
	v_fma_f64 v[214:215], v[168:169], s[14:15], -v[212:213]
	v_fmac_f64_e32 v[126:127], s[22:23], v[158:159]
	v_add_f64 v[116:117], v[192:193], v[116:117]
	v_mul_f64 v[128:129], v[152:153], s[38:39]
	v_fma_f64 v[192:193], s[22:23], v[146:147], v[190:191]
	v_add_f64 v[196:197], v[196:197], v[200:201]
	v_mul_f64 v[204:205], v[180:181], s[28:29]
	v_fma_f64 v[210:211], v[166:167], s[20:21], -v[208:209]
	v_add_f64 v[214:215], v[88:89], v[214:215]
	v_fmac_f64_e32 v[122:123], s[14:15], v[156:157]
	v_add_f64 v[116:117], v[126:127], v[116:117]
	v_mul_f64 v[126:127], v[148:149], s[44:45]
	v_fma_f64 v[130:131], s[10:11], v[142:143], v[128:129]
	v_add_f64 v[192:193], v[192:193], v[196:197]
	v_mul_f64 v[200:201], v[178:179], s[38:39]
	v_fma_f64 v[206:207], v[164:165], s[22:23], -v[204:205]
	v_add_f64 v[210:211], v[210:211], v[214:215]
	v_add_f64 v[116:117], v[122:123], v[116:117]
	v_mul_f64 v[124:125], v[144:145], s[40:41]
	v_fma_f64 v[122:123], s[26:27], v[140:141], v[126:127]
	v_add_f64 v[130:131], v[130:131], v[192:193]
	v_mul_f64 v[192:193], v[176:177], s[44:45]
	v_fma_f64 v[202:203], v[162:163], s[10:11], -v[200:201]
	v_add_f64 v[206:207], v[206:207], v[210:211]
	v_fma_f64 v[120:121], s[16:17], v[138:139], v[124:125]
	v_add_f64 v[122:123], v[122:123], v[130:131]
	v_mul_f64 v[130:131], v[174:175], s[40:41]
	v_fma_f64 v[196:197], v[158:159], s[26:27], -v[192:193]
	v_add_f64 v[202:203], v[202:203], v[206:207]
	v_add_f64 v[122:123], v[120:121], v[122:123]
	v_fma_f64 v[120:121], v[156:157], s[16:17], -v[130:131]
	v_add_f64 v[196:197], v[196:197], v[202:203]
	v_add_f64 v[120:121], v[120:121], v[196:197]
	v_fma_f64 v[196:197], v[154:155], s[14:15], -v[198:199]
	v_fma_f64 v[194:195], v[150:151], s[20:21], -v[194:195]
	v_add_f64 v[196:197], v[90:91], v[196:197]
	v_fma_f64 v[190:191], v[146:147], s[22:23], -v[190:191]
	v_add_f64 v[194:195], v[194:195], v[196:197]
	;; [unrolled: 2-line block ×5, first 2 shown]
	v_fmac_f64_e32 v[212:213], s[14:15], v[168:169]
	v_add_f64 v[126:127], v[124:125], v[126:127]
	v_fmac_f64_e32 v[208:209], s[20:21], v[166:167]
	v_add_f64 v[124:125], v[88:89], v[212:213]
	v_mul_f64 v[206:207], v[172:173], s[38:39]
	v_fmac_f64_e32 v[204:205], s[22:23], v[164:165]
	v_add_f64 v[124:125], v[208:209], v[124:125]
	s_mov_b32 s41, 0x3fedeba7
	s_mov_b32 s40, s18
	v_mul_f64 v[202:203], v[170:171], s[30:31]
	v_fma_f64 v[208:209], s[10:11], v[154:155], v[206:207]
	v_mul_f64 v[220:221], v[184:185], s[38:39]
	v_fmac_f64_e32 v[200:201], s[10:11], v[162:163]
	v_add_f64 v[124:125], v[204:205], v[124:125]
	v_mul_f64 v[198:199], v[160:161], s[40:41]
	v_fma_f64 v[204:205], s[26:27], v[150:151], v[202:203]
	v_add_f64 v[208:209], v[90:91], v[208:209]
	v_mul_f64 v[216:217], v[182:183], s[30:31]
	v_fma_f64 v[222:223], v[168:169], s[10:11], -v[220:221]
	v_fmac_f64_e32 v[192:193], s[26:27], v[158:159]
	v_add_f64 v[124:125], v[200:201], v[124:125]
	v_mul_f64 v[194:195], v[152:153], s[28:29]
	v_fma_f64 v[200:201], s[14:15], v[146:147], v[198:199]
	v_add_f64 v[204:205], v[204:205], v[208:209]
	v_mul_f64 v[212:213], v[180:181], s[40:41]
	v_fma_f64 v[218:219], v[166:167], s[26:27], -v[216:217]
	v_add_f64 v[222:223], v[88:89], v[222:223]
	v_fmac_f64_e32 v[130:131], s[16:17], v[156:157]
	v_add_f64 v[124:125], v[192:193], v[124:125]
	v_mul_f64 v[192:193], v[148:149], s[36:37]
	v_fma_f64 v[196:197], s[22:23], v[142:143], v[194:195]
	v_add_f64 v[200:201], v[200:201], v[204:205]
	v_mul_f64 v[208:209], v[178:179], s[28:29]
	v_fma_f64 v[214:215], v[164:165], s[14:15], -v[212:213]
	v_add_f64 v[218:219], v[218:219], v[222:223]
	v_add_f64 v[124:125], v[130:131], v[124:125]
	v_mul_f64 v[190:191], v[144:145], s[24:25]
	v_fma_f64 v[130:131], s[16:17], v[140:141], v[192:193]
	v_add_f64 v[196:197], v[196:197], v[200:201]
	v_mul_f64 v[200:201], v[176:177], s[36:37]
	v_fma_f64 v[210:211], v[162:163], s[22:23], -v[208:209]
	v_add_f64 v[214:215], v[214:215], v[218:219]
	v_fma_f64 v[128:129], s[20:21], v[138:139], v[190:191]
	v_add_f64 v[130:131], v[130:131], v[196:197]
	v_mul_f64 v[196:197], v[174:175], s[24:25]
	v_fma_f64 v[204:205], v[158:159], s[16:17], -v[200:201]
	v_add_f64 v[210:211], v[210:211], v[214:215]
	v_add_f64 v[130:131], v[128:129], v[130:131]
	v_fma_f64 v[128:129], v[156:157], s[20:21], -v[196:197]
	v_add_f64 v[204:205], v[204:205], v[210:211]
	v_add_f64 v[128:129], v[128:129], v[204:205]
	v_fma_f64 v[204:205], v[154:155], s[10:11], -v[206:207]
	v_fma_f64 v[202:203], v[150:151], s[26:27], -v[202:203]
	v_add_f64 v[204:205], v[90:91], v[204:205]
	v_fma_f64 v[198:199], v[146:147], s[14:15], -v[198:199]
	v_add_f64 v[202:203], v[202:203], v[204:205]
	;; [unrolled: 2-line block ×5, first 2 shown]
	v_fmac_f64_e32 v[220:221], s[10:11], v[168:169]
	v_add_f64 v[192:193], v[190:191], v[192:193]
	v_fmac_f64_e32 v[216:217], s[26:27], v[166:167]
	v_add_f64 v[190:191], v[88:89], v[220:221]
	v_mul_f64 v[214:215], v[172:173], s[36:37]
	v_fmac_f64_e32 v[212:213], s[14:15], v[164:165]
	v_add_f64 v[190:191], v[216:217], v[190:191]
	v_mul_f64 v[210:211], v[170:171], s[18:19]
	v_fma_f64 v[216:217], s[16:17], v[154:155], v[214:215]
	v_mul_f64 v[228:229], v[184:185], s[36:37]
	v_fmac_f64_e32 v[208:209], s[22:23], v[162:163]
	v_add_f64 v[190:191], v[212:213], v[190:191]
	v_mul_f64 v[206:207], v[160:161], s[30:31]
	v_fma_f64 v[212:213], s[14:15], v[150:151], v[210:211]
	v_add_f64 v[216:217], v[90:91], v[216:217]
	v_mul_f64 v[224:225], v[182:183], s[18:19]
	v_fma_f64 v[230:231], v[168:169], s[16:17], -v[228:229]
	v_fmac_f64_e32 v[200:201], s[16:17], v[158:159]
	v_add_f64 v[190:191], v[208:209], v[190:191]
	v_mul_f64 v[202:203], v[152:153], s[42:43]
	v_fma_f64 v[208:209], s[26:27], v[146:147], v[206:207]
	v_add_f64 v[212:213], v[212:213], v[216:217]
	v_mul_f64 v[220:221], v[180:181], s[30:31]
	v_fma_f64 v[226:227], v[166:167], s[14:15], -v[224:225]
	v_add_f64 v[230:231], v[88:89], v[230:231]
	v_fmac_f64_e32 v[196:197], s[20:21], v[156:157]
	v_add_f64 v[190:191], v[200:201], v[190:191]
	v_mul_f64 v[200:201], v[148:149], s[34:35]
	v_fma_f64 v[204:205], s[20:21], v[142:143], v[202:203]
	v_add_f64 v[208:209], v[208:209], v[212:213]
	v_mul_f64 v[216:217], v[178:179], s[42:43]
	v_fma_f64 v[222:223], v[164:165], s[26:27], -v[220:221]
	v_add_f64 v[226:227], v[226:227], v[230:231]
	v_add_f64 v[190:191], v[196:197], v[190:191]
	v_mul_f64 v[198:199], v[144:145], s[28:29]
	v_fma_f64 v[196:197], s[10:11], v[140:141], v[200:201]
	v_add_f64 v[204:205], v[204:205], v[208:209]
	v_mul_f64 v[208:209], v[176:177], s[34:35]
	v_fma_f64 v[218:219], v[162:163], s[20:21], -v[216:217]
	v_add_f64 v[222:223], v[222:223], v[226:227]
	v_fma_f64 v[194:195], s[22:23], v[138:139], v[198:199]
	v_add_f64 v[196:197], v[196:197], v[204:205]
	v_mul_f64 v[204:205], v[174:175], s[28:29]
	v_fma_f64 v[212:213], v[158:159], s[10:11], -v[208:209]
	v_add_f64 v[218:219], v[218:219], v[222:223]
	v_add_f64 v[196:197], v[194:195], v[196:197]
	v_fma_f64 v[194:195], v[156:157], s[22:23], -v[204:205]
	v_add_f64 v[212:213], v[212:213], v[218:219]
	v_add_f64 v[194:195], v[194:195], v[212:213]
	v_fma_f64 v[212:213], v[154:155], s[16:17], -v[214:215]
	v_fma_f64 v[210:211], v[150:151], s[14:15], -v[210:211]
	v_add_f64 v[212:213], v[90:91], v[212:213]
	v_fma_f64 v[206:207], v[146:147], s[26:27], -v[206:207]
	v_add_f64 v[210:211], v[210:211], v[212:213]
	;; [unrolled: 2-line block ×5, first 2 shown]
	v_fmac_f64_e32 v[228:229], s[16:17], v[168:169]
	v_add_f64 v[200:201], v[198:199], v[200:201]
	v_fmac_f64_e32 v[224:225], s[14:15], v[166:167]
	v_add_f64 v[198:199], v[88:89], v[228:229]
	;; [unrolled: 2-line block ×5, first 2 shown]
	s_mov_b32 s29, 0xbfddbe06
	v_fmac_f64_e32 v[204:205], s[22:23], v[156:157]
	v_add_f64 v[198:199], v[208:209], v[198:199]
	v_mul_f64 v[148:149], v[148:149], s[24:25]
	v_mul_f64 v[212:213], v[172:173], s[28:29]
	v_add_f64 v[198:199], v[204:205], v[198:199]
	v_fma_f64 v[204:205], s[20:21], v[140:141], v[148:149]
	v_fma_f64 v[172:173], s[22:23], v[154:155], v[212:213]
	v_fma_f64 v[140:141], v[140:141], s[20:21], -v[148:149]
	v_fma_f64 v[148:149], v[154:155], s[22:23], -v[212:213]
	v_add_f64 v[172:173], v[90:91], v[172:173]
	v_add_f64 v[148:149], v[90:91], v[148:149]
	;; [unrolled: 1-line block ×15, first 2 shown]
	v_mul_f64 v[144:145], v[144:145], s[30:31]
	v_mul_f64 v[160:161], v[160:161], s[38:39]
	;; [unrolled: 1-line block ×3, first 2 shown]
	v_add_f64 v[6:7], v[6:7], v[80:81]
	v_fma_f64 v[202:203], s[26:27], v[138:139], v[144:145]
	v_fma_f64 v[208:209], s[10:11], v[146:147], v[160:161]
	v_fma_f64 v[138:139], v[138:139], s[26:27], -v[144:145]
	v_fma_f64 v[144:145], v[146:147], s[10:11], -v[160:161]
	;; [unrolled: 1-line block ×3, first 2 shown]
	v_add_f64 v[6:7], v[6:7], v[96:97]
	v_mul_f64 v[152:153], v[152:153], s[18:19]
	v_add_f64 v[146:147], v[146:147], v[148:149]
	v_add_f64 v[6:7], v[6:7], v[100:101]
	v_fma_f64 v[206:207], s[14:15], v[142:143], v[152:153]
	v_fma_f64 v[142:143], v[142:143], s[14:15], -v[152:153]
	v_add_f64 v[144:145], v[144:145], v[146:147]
	v_add_f64 v[6:7], v[6:7], v[84:85]
	v_fma_f64 v[170:171], s[16:17], v[150:151], v[210:211]
	v_mul_f64 v[184:185], v[184:185], s[28:29]
	v_add_f64 v[142:143], v[142:143], v[144:145]
	v_add_f64 v[6:7], v[6:7], v[20:21]
	;; [unrolled: 1-line block ×3, first 2 shown]
	v_mul_f64 v[182:183], v[182:183], s[36:37]
	v_fma_f64 v[214:215], v[168:169], s[22:23], -v[184:185]
	v_add_f64 v[140:141], v[140:141], v[142:143]
	v_fmac_f64_e32 v[184:185], s[22:23], v[168:169]
	v_add_f64 v[6:7], v[6:7], v[24:25]
	v_add_f64 v[170:171], v[208:209], v[170:171]
	v_mul_f64 v[180:181], v[180:181], s[38:39]
	v_fma_f64 v[208:209], v[166:167], s[16:17], -v[182:183]
	v_add_f64 v[214:215], v[88:89], v[214:215]
	v_add_f64 v[140:141], v[138:139], v[140:141]
	v_fmac_f64_e32 v[182:183], s[16:17], v[166:167]
	v_add_f64 v[138:139], v[88:89], v[184:185]
	v_add_f64 v[6:7], v[6:7], v[16:17]
	v_add_f64 v[170:171], v[206:207], v[170:171]
	v_mul_f64 v[178:179], v[178:179], s[18:19]
	v_fma_f64 v[206:207], v[164:165], s[10:11], -v[180:181]
	v_add_f64 v[208:209], v[208:209], v[214:215]
	v_fmac_f64_e32 v[180:181], s[10:11], v[164:165]
	v_add_f64 v[138:139], v[182:183], v[138:139]
	v_add_f64 v[6:7], v[6:7], v[12:13]
	v_add_f64 v[170:171], v[204:205], v[170:171]
	v_mul_f64 v[176:177], v[176:177], s[24:25]
	v_fma_f64 v[204:205], v[162:163], s[14:15], -v[178:179]
	;; [unrolled: 7-line block ×3, first 2 shown]
	v_add_f64 v[204:205], v[204:205], v[206:207]
	v_fmac_f64_e32 v[176:177], s[20:21], v[158:159]
	v_add_f64 v[138:139], v[178:179], v[138:139]
	v_add_f64 v[4:5], v[6:7], v[4:5]
	v_fma_f64 v[170:171], v[156:157], s[26:27], -v[174:175]
	v_add_f64 v[202:203], v[202:203], v[204:205]
	v_fmac_f64_e32 v[174:175], s[26:27], v[156:157]
	v_add_f64 v[138:139], v[176:177], v[138:139]
	v_add_f64 v[0:1], v[4:5], v[0:1]
	v_lshlrev_b32_e32 v4, 4, v137
	v_add_f64 v[170:171], v[170:171], v[202:203]
	v_add_f64 v[138:139], v[174:175], v[138:139]
	ds_write_b128 v4, v[0:3]
	ds_write_b128 v4, v[138:141] offset:16
	ds_write_b128 v4, v[198:201] offset:32
	;; [unrolled: 1-line block ×12, first 2 shown]
.LBB0_13:
	s_or_b64 exec, exec, s[0:1]
	s_waitcnt lgkmcnt(0)
	s_barrier
	ds_read_b128 v[0:3], v135 offset:3744
	ds_read_b128 v[4:7], v135
	ds_read_b128 v[8:11], v135 offset:1872
	ds_read_b128 v[12:15], v135 offset:5616
	;; [unrolled: 1-line block ×4, first 2 shown]
	s_waitcnt lgkmcnt(5)
	v_mul_f64 v[24:25], v[34:35], v[2:3]
	v_fmac_f64_e32 v[24:25], v[32:33], v[0:1]
	v_mul_f64 v[0:1], v[34:35], v[0:1]
	v_fma_f64 v[26:27], v[32:33], v[2:3], -v[0:1]
	s_waitcnt lgkmcnt(1)
	v_mul_f64 v[32:33], v[30:31], v[18:19]
	v_mul_f64 v[0:1], v[30:31], v[16:17]
	v_fmac_f64_e32 v[32:33], v[28:29], v[16:17]
	v_fma_f64 v[16:17], v[28:29], v[18:19], -v[0:1]
	v_mul_f64 v[0:1], v[42:43], v[12:13]
	v_fma_f64 v[30:31], v[40:41], v[14:15], -v[0:1]
	s_waitcnt lgkmcnt(0)
	v_mul_f64 v[0:1], v[38:39], v[20:21]
	v_add_f64 v[2:3], v[24:25], v[32:33]
	s_mov_b32 s0, 0xe8584caa
	v_mul_f64 v[28:29], v[42:43], v[14:15]
	v_mul_f64 v[34:35], v[38:39], v[22:23]
	v_fma_f64 v[22:23], v[36:37], v[22:23], -v[0:1]
	v_add_f64 v[0:1], v[4:5], v[24:25]
	v_fmac_f64_e32 v[4:5], -0.5, v[2:3]
	v_add_f64 v[2:3], v[26:27], -v[16:17]
	s_mov_b32 s1, 0xbfebb67a
	s_mov_b32 s11, 0x3febb67a
	;; [unrolled: 1-line block ×3, first 2 shown]
	v_fmac_f64_e32 v[28:29], v[40:41], v[12:13]
	v_fmac_f64_e32 v[34:35], v[36:37], v[20:21]
	v_fma_f64 v[12:13], s[0:1], v[2:3], v[4:5]
	v_fmac_f64_e32 v[4:5], s[10:11], v[2:3]
	v_add_f64 v[2:3], v[6:7], v[26:27]
	v_add_f64 v[14:15], v[26:27], v[16:17]
	;; [unrolled: 1-line block ×3, first 2 shown]
	v_fmac_f64_e32 v[6:7], -0.5, v[14:15]
	v_add_f64 v[16:17], v[24:25], -v[32:33]
	v_add_f64 v[18:19], v[28:29], v[34:35]
	v_fma_f64 v[14:15], s[10:11], v[16:17], v[6:7]
	v_fmac_f64_e32 v[6:7], s[0:1], v[16:17]
	v_add_f64 v[16:17], v[8:9], v[28:29]
	v_fmac_f64_e32 v[8:9], -0.5, v[18:19]
	v_add_f64 v[18:19], v[30:31], -v[22:23]
	v_fma_f64 v[20:21], s[0:1], v[18:19], v[8:9]
	v_fmac_f64_e32 v[8:9], s[10:11], v[18:19]
	v_add_f64 v[18:19], v[10:11], v[30:31]
	v_add_f64 v[18:19], v[18:19], v[22:23]
	;; [unrolled: 1-line block ×3, first 2 shown]
	v_fmac_f64_e32 v[10:11], -0.5, v[22:23]
	v_add_f64 v[24:25], v[28:29], -v[34:35]
	v_add_f64 v[0:1], v[0:1], v[32:33]
	v_add_f64 v[16:17], v[16:17], v[34:35]
	v_fma_f64 v[22:23], s[10:11], v[24:25], v[10:11]
	v_fmac_f64_e32 v[10:11], s[0:1], v[24:25]
	s_barrier
	ds_write_b128 v187, v[0:3]
	ds_write_b128 v187, v[12:15] offset:208
	ds_write_b128 v187, v[4:7] offset:416
	ds_write_b128 v186, v[16:19]
	ds_write_b128 v186, v[20:23] offset:208
	ds_write_b128 v186, v[8:11] offset:416
	s_waitcnt lgkmcnt(0)
	s_barrier
	ds_read_b128 v[0:3], v135
	ds_read_b128 v[4:7], v135 offset:1872
	ds_read_b128 v[8:11], v135 offset:3744
	;; [unrolled: 1-line block ×5, first 2 shown]
	s_waitcnt lgkmcnt(4)
	v_mul_f64 v[24:25], v[58:59], v[6:7]
	v_fmac_f64_e32 v[24:25], v[56:57], v[4:5]
	v_mul_f64 v[4:5], v[58:59], v[4:5]
	v_fma_f64 v[26:27], v[56:57], v[6:7], -v[4:5]
	s_waitcnt lgkmcnt(3)
	v_mul_f64 v[4:5], v[54:55], v[10:11]
	v_mul_f64 v[6:7], v[54:55], v[8:9]
	v_fmac_f64_e32 v[4:5], v[52:53], v[8:9]
	v_fma_f64 v[6:7], v[52:53], v[10:11], -v[6:7]
	s_waitcnt lgkmcnt(2)
	v_mul_f64 v[8:9], v[50:51], v[14:15]
	v_mul_f64 v[10:11], v[50:51], v[12:13]
	v_fmac_f64_e32 v[8:9], v[48:49], v[12:13]
	;; [unrolled: 5-line block ×3, first 2 shown]
	v_fma_f64 v[14:15], v[44:45], v[18:19], -v[14:15]
	s_waitcnt lgkmcnt(0)
	v_mul_f64 v[18:19], v[62:63], v[20:21]
	v_mul_f64 v[16:17], v[62:63], v[22:23]
	v_fma_f64 v[18:19], v[60:61], v[22:23], -v[18:19]
	v_add_f64 v[22:23], v[4:5], v[12:13]
	v_fmac_f64_e32 v[16:17], v[60:61], v[20:21]
	v_add_f64 v[20:21], v[0:1], v[4:5]
	v_fmac_f64_e32 v[0:1], -0.5, v[22:23]
	v_add_f64 v[22:23], v[6:7], -v[14:15]
	v_fma_f64 v[28:29], s[0:1], v[22:23], v[0:1]
	v_fmac_f64_e32 v[0:1], s[10:11], v[22:23]
	v_add_f64 v[22:23], v[2:3], v[6:7]
	v_add_f64 v[6:7], v[6:7], v[14:15]
	v_fmac_f64_e32 v[2:3], -0.5, v[6:7]
	v_add_f64 v[4:5], v[4:5], -v[12:13]
	v_fma_f64 v[30:31], s[10:11], v[4:5], v[2:3]
	v_fmac_f64_e32 v[2:3], s[0:1], v[4:5]
	v_add_f64 v[4:5], v[24:25], v[8:9]
	v_add_f64 v[32:33], v[4:5], v[16:17]
	;; [unrolled: 1-line block ×3, first 2 shown]
	v_fmac_f64_e32 v[24:25], -0.5, v[4:5]
	v_add_f64 v[4:5], v[10:11], -v[18:19]
	v_add_f64 v[22:23], v[22:23], v[14:15]
	v_fma_f64 v[14:15], s[0:1], v[4:5], v[24:25]
	v_fmac_f64_e32 v[24:25], s[10:11], v[4:5]
	v_add_f64 v[4:5], v[26:27], v[10:11]
	v_add_f64 v[34:35], v[4:5], v[18:19]
	;; [unrolled: 1-line block ×3, first 2 shown]
	v_fmac_f64_e32 v[26:27], -0.5, v[4:5]
	v_add_f64 v[4:5], v[8:9], -v[16:17]
	v_fma_f64 v[10:11], s[10:11], v[4:5], v[26:27]
	v_fmac_f64_e32 v[26:27], s[0:1], v[4:5]
	v_mul_f64 v[18:19], v[10:11], s[0:1]
	v_mul_f64 v[36:37], v[26:27], s[0:1]
	v_mul_f64 v[38:39], v[10:11], 0.5
	v_mul_f64 v[26:27], v[26:27], -0.5
	v_add_f64 v[20:21], v[20:21], v[12:13]
	v_fmac_f64_e32 v[18:19], 0.5, v[14:15]
	v_fmac_f64_e32 v[36:37], -0.5, v[24:25]
	v_fmac_f64_e32 v[38:39], s[10:11], v[14:15]
	v_fmac_f64_e32 v[26:27], s[10:11], v[24:25]
	v_add_f64 v[4:5], v[20:21], v[32:33]
	v_add_f64 v[8:9], v[28:29], v[18:19]
	;; [unrolled: 1-line block ×6, first 2 shown]
	v_add_f64 v[16:17], v[20:21], -v[32:33]
	v_add_f64 v[20:21], v[28:29], -v[18:19]
	v_add_f64 v[0:1], v[0:1], -v[36:37]
	v_add_f64 v[18:19], v[22:23], -v[34:35]
	v_add_f64 v[22:23], v[30:31], -v[38:39]
	v_add_f64 v[2:3], v[2:3], -v[26:27]
	s_barrier
	ds_write_b128 v188, v[4:7]
	ds_write_b128 v188, v[8:11] offset:624
	ds_write_b128 v188, v[12:15] offset:1248
	ds_write_b128 v188, v[16:19] offset:1872
	ds_write_b128 v188, v[20:23] offset:2496
	ds_write_b128 v188, v[0:3] offset:3120
	s_waitcnt lgkmcnt(0)
	s_barrier
	ds_read_b128 v[0:3], v135 offset:3744
	ds_read_b128 v[4:7], v135
	ds_read_b128 v[8:11], v135 offset:1872
	ds_read_b128 v[12:15], v135 offset:5616
	;; [unrolled: 1-line block ×4, first 2 shown]
	s_waitcnt lgkmcnt(5)
	v_mul_f64 v[24:25], v[70:71], v[2:3]
	v_fmac_f64_e32 v[24:25], v[68:69], v[0:1]
	v_mul_f64 v[0:1], v[70:71], v[0:1]
	v_fma_f64 v[26:27], v[68:69], v[2:3], -v[0:1]
	s_waitcnt lgkmcnt(1)
	v_mul_f64 v[28:29], v[66:67], v[18:19]
	v_mul_f64 v[0:1], v[66:67], v[16:17]
	v_fmac_f64_e32 v[28:29], v[64:65], v[16:17]
	v_fma_f64 v[16:17], v[64:65], v[18:19], -v[0:1]
	v_mul_f64 v[0:1], v[78:79], v[12:13]
	v_fma_f64 v[32:33], v[76:77], v[14:15], -v[0:1]
	s_waitcnt lgkmcnt(0)
	v_mul_f64 v[0:1], v[74:75], v[20:21]
	v_add_f64 v[2:3], v[24:25], v[28:29]
	v_mul_f64 v[30:31], v[78:79], v[14:15]
	v_mul_f64 v[34:35], v[74:75], v[22:23]
	v_fma_f64 v[22:23], v[72:73], v[22:23], -v[0:1]
	v_add_f64 v[0:1], v[4:5], v[24:25]
	v_fmac_f64_e32 v[4:5], -0.5, v[2:3]
	v_add_f64 v[2:3], v[26:27], -v[16:17]
	v_fmac_f64_e32 v[30:31], v[76:77], v[12:13]
	v_fmac_f64_e32 v[34:35], v[72:73], v[20:21]
	v_fma_f64 v[12:13], s[0:1], v[2:3], v[4:5]
	v_fmac_f64_e32 v[4:5], s[10:11], v[2:3]
	v_add_f64 v[2:3], v[6:7], v[26:27]
	v_add_f64 v[14:15], v[26:27], v[16:17]
	;; [unrolled: 1-line block ×3, first 2 shown]
	v_fmac_f64_e32 v[6:7], -0.5, v[14:15]
	v_add_f64 v[16:17], v[24:25], -v[28:29]
	v_add_f64 v[18:19], v[30:31], v[34:35]
	v_fma_f64 v[14:15], s[10:11], v[16:17], v[6:7]
	v_fmac_f64_e32 v[6:7], s[0:1], v[16:17]
	v_add_f64 v[16:17], v[8:9], v[30:31]
	v_fmac_f64_e32 v[8:9], -0.5, v[18:19]
	v_add_f64 v[18:19], v[32:33], -v[22:23]
	v_fma_f64 v[20:21], s[0:1], v[18:19], v[8:9]
	v_fmac_f64_e32 v[8:9], s[10:11], v[18:19]
	v_add_f64 v[18:19], v[10:11], v[32:33]
	v_add_f64 v[18:19], v[18:19], v[22:23]
	;; [unrolled: 1-line block ×4, first 2 shown]
	v_fmac_f64_e32 v[10:11], -0.5, v[22:23]
	v_add_f64 v[24:25], v[30:31], -v[34:35]
	v_add_f64 v[16:17], v[16:17], v[34:35]
	v_fma_f64 v[22:23], s[10:11], v[24:25], v[10:11]
	v_fmac_f64_e32 v[10:11], s[0:1], v[24:25]
	ds_write_b128 v135, v[0:3]
	ds_write_b128 v135, v[12:15] offset:3744
	ds_write_b128 v135, v[4:7] offset:7488
	;; [unrolled: 1-line block ×5, first 2 shown]
	s_waitcnt lgkmcnt(0)
	s_barrier
	s_and_b64 exec, exec, s[2:3]
	s_cbranch_execz .LBB0_15
; %bb.14:
	global_load_dwordx4 v[0:3], v132, s[8:9]
	global_load_dwordx4 v[4:7], v132, s[8:9] offset:864
	global_load_dwordx4 v[8:11], v132, s[8:9] offset:1728
	;; [unrolled: 1-line block ×4, first 2 shown]
	v_mad_u64_u32 v[66:67], s[0:1], s6, v136, 0
	v_mov_b32_e32 v133, 0
	s_movk_i32 s0, 0x1000
	v_lshl_add_u64 v[50:51], s[8:9], 0, v[132:133]
	v_add_co_u32_e32 v68, vcc, s0, v50
	ds_read_b128 v[26:29], v135
	s_nop 0
	v_addc_co_u32_e32 v69, vcc, 0, v51, vcc
	global_load_dwordx4 v[20:23], v[68:69], off offset:224
	ds_read_b128 v[30:33], v132 offset:864
	ds_read_b128 v[34:37], v132 offset:1728
	;; [unrolled: 1-line block ×4, first 2 shown]
	global_load_dwordx4 v[46:49], v[68:69], off offset:1088
	v_mad_u64_u32 v[70:71], s[2:3], s4, v134, 0
	s_movk_i32 s3, 0x2000
	v_mov_b32_e32 v52, v67
	v_add_co_u32_e32 v72, vcc, s3, v50
	v_mad_u64_u32 v[56:57], s[6:7], s7, v136, v[52:53]
	s_nop 0
	v_addc_co_u32_e32 v73, vcc, 0, v51, vcc
	global_load_dwordx4 v[50:53], v[68:69], off offset:1952
	v_mov_b32_e32 v54, v71
	v_mad_u64_u32 v[54:55], s[6:7], s5, v134, v[54:55]
	v_mov_b32_e32 v67, v56
	v_mov_b32_e32 v71, v54
	global_load_dwordx4 v[54:57], v[68:69], off offset:2816
	global_load_dwordx4 v[58:61], v[68:69], off offset:3680
	;; [unrolled: 1-line block ×3, first 2 shown]
	v_mov_b32_e32 v24, s12
	v_mov_b32_e32 v25, s13
	v_lshl_add_u64 v[24:25], v[66:67], 4, v[24:25]
	v_mov_b32_e32 v82, 0x360
	v_lshl_add_u64 v[24:25], v[70:71], 4, v[24:25]
	s_mov_b32 s0, 0xc201756d
	s_mul_i32 s2, s5, 0x360
	v_mad_u64_u32 v[66:67], s[6:7], s4, v82, v[24:25]
	s_mov_b32 s1, 0x3f5756ca
	v_add_u32_e32 v67, s2, v67
	v_mad_u64_u32 v[68:69], s[6:7], s4, v82, v[66:67]
	v_add_u32_e32 v69, s2, v69
	v_mad_u64_u32 v[70:71], s[6:7], s4, v82, v[68:69]
	v_add_u32_e32 v71, s2, v71
	s_waitcnt vmcnt(10) lgkmcnt(4)
	v_mul_f64 v[74:75], v[28:29], v[2:3]
	v_mul_f64 v[2:3], v[26:27], v[2:3]
	s_waitcnt vmcnt(9) lgkmcnt(3)
	v_mul_f64 v[76:77], v[32:33], v[6:7]
	v_mul_f64 v[6:7], v[30:31], v[6:7]
	;; [unrolled: 3-line block ×3, first 2 shown]
	v_fmac_f64_e32 v[74:75], v[26:27], v[0:1]
	v_fma_f64 v[2:3], v[0:1], v[28:29], -v[2:3]
	v_fmac_f64_e32 v[76:77], v[30:31], v[4:5]
	v_fma_f64 v[6:7], v[4:5], v[32:33], -v[6:7]
	;; [unrolled: 2-line block ×3, first 2 shown]
	v_mul_f64 v[0:1], v[74:75], s[0:1]
	v_mul_f64 v[2:3], v[2:3], s[0:1]
	;; [unrolled: 1-line block ×6, first 2 shown]
	global_store_dwordx4 v[24:25], v[0:3], off
	global_store_dwordx4 v[66:67], v[4:7], off
	;; [unrolled: 1-line block ×3, first 2 shown]
	global_load_dwordx4 v[0:3], v[72:73], off offset:1312
	s_waitcnt vmcnt(11) lgkmcnt(1)
	v_mul_f64 v[80:81], v[40:41], v[18:19]
	v_mul_f64 v[18:19], v[38:39], v[18:19]
	v_fmac_f64_e32 v[80:81], v[38:39], v[16:17]
	v_fma_f64 v[18:19], v[16:17], v[40:41], -v[18:19]
	v_mul_f64 v[16:17], v[80:81], s[0:1]
	v_mul_f64 v[18:19], v[18:19], s[0:1]
	s_waitcnt vmcnt(10) lgkmcnt(0)
	v_mul_f64 v[4:5], v[44:45], v[14:15]
	v_mul_f64 v[6:7], v[42:43], v[14:15]
	ds_read_b128 v[8:11], v132 offset:4320
	global_store_dwordx4 v[70:71], v[16:19], off
	v_fmac_f64_e32 v[4:5], v[42:43], v[12:13]
	v_fma_f64 v[6:7], v[12:13], v[44:45], -v[6:7]
	v_mad_u64_u32 v[16:17], s[6:7], s4, v82, v[70:71]
	v_mul_f64 v[4:5], v[4:5], s[0:1]
	v_mul_f64 v[6:7], v[6:7], s[0:1]
	v_add_u32_e32 v17, s2, v17
	global_store_dwordx4 v[16:17], v[4:7], off
	ds_read_b128 v[4:7], v132 offset:5184
	s_waitcnt vmcnt(11) lgkmcnt(1)
	v_mul_f64 v[12:13], v[10:11], v[22:23]
	v_fmac_f64_e32 v[12:13], v[8:9], v[20:21]
	v_mul_f64 v[8:9], v[8:9], v[22:23]
	v_fma_f64 v[8:9], v[20:21], v[10:11], -v[8:9]
	v_mul_f64 v[14:15], v[8:9], s[0:1]
	s_waitcnt vmcnt(10) lgkmcnt(0)
	v_mul_f64 v[8:9], v[6:7], v[48:49]
	v_fmac_f64_e32 v[8:9], v[4:5], v[46:47]
	v_mul_f64 v[4:5], v[4:5], v[48:49]
	v_mad_u64_u32 v[16:17], s[6:7], s4, v82, v[16:17]
	v_fma_f64 v[4:5], v[46:47], v[6:7], -v[4:5]
	v_mul_f64 v[12:13], v[12:13], s[0:1]
	v_add_u32_e32 v17, s2, v17
	v_mul_f64 v[10:11], v[4:5], s[0:1]
	ds_read_b128 v[4:7], v132 offset:6048
	global_store_dwordx4 v[16:17], v[12:15], off
	v_mad_u64_u32 v[16:17], s[6:7], s4, v82, v[16:17]
	v_mul_f64 v[8:9], v[8:9], s[0:1]
	v_add_u32_e32 v17, s2, v17
	global_store_dwordx4 v[16:17], v[8:11], off
	ds_read_b128 v[8:11], v132 offset:6912
	s_waitcnt vmcnt(11) lgkmcnt(1)
	v_mul_f64 v[12:13], v[6:7], v[52:53]
	v_fmac_f64_e32 v[12:13], v[4:5], v[50:51]
	v_mul_f64 v[4:5], v[4:5], v[52:53]
	v_fma_f64 v[4:5], v[50:51], v[6:7], -v[4:5]
	v_mul_f64 v[14:15], v[4:5], s[0:1]
	v_mad_u64_u32 v[16:17], s[6:7], s4, v82, v[16:17]
	s_waitcnt vmcnt(10) lgkmcnt(0)
	v_mul_f64 v[4:5], v[10:11], v[56:57]
	v_mul_f64 v[6:7], v[8:9], v[56:57]
	v_mul_f64 v[12:13], v[12:13], s[0:1]
	v_add_u32_e32 v17, s2, v17
	v_fmac_f64_e32 v[4:5], v[8:9], v[54:55]
	v_fma_f64 v[6:7], v[54:55], v[10:11], -v[6:7]
	ds_read_b128 v[8:11], v132 offset:7776
	global_store_dwordx4 v[16:17], v[12:15], off
	v_mad_u64_u32 v[16:17], s[6:7], s4, v82, v[16:17]
	v_mul_f64 v[4:5], v[4:5], s[0:1]
	v_mul_f64 v[6:7], v[6:7], s[0:1]
	v_add_u32_e32 v17, s2, v17
	global_store_dwordx4 v[16:17], v[4:7], off
	ds_read_b128 v[4:7], v132 offset:8640
	s_waitcnt vmcnt(11) lgkmcnt(1)
	v_mul_f64 v[12:13], v[10:11], v[60:61]
	v_fmac_f64_e32 v[12:13], v[8:9], v[58:59]
	v_mul_f64 v[8:9], v[8:9], v[60:61]
	v_fma_f64 v[8:9], v[58:59], v[10:11], -v[8:9]
	v_mul_f64 v[14:15], v[8:9], s[0:1]
	s_waitcnt vmcnt(10) lgkmcnt(0)
	v_mul_f64 v[8:9], v[6:7], v[64:65]
	v_fmac_f64_e32 v[8:9], v[4:5], v[62:63]
	v_mul_f64 v[4:5], v[4:5], v[64:65]
	v_fma_f64 v[4:5], v[62:63], v[6:7], -v[4:5]
	v_mul_f64 v[10:11], v[4:5], s[0:1]
	ds_read_b128 v[4:7], v132 offset:9504
	v_mad_u64_u32 v[16:17], s[6:7], s4, v82, v[16:17]
	v_mul_f64 v[12:13], v[12:13], s[0:1]
	v_add_u32_e32 v17, s2, v17
	global_store_dwordx4 v[16:17], v[12:15], off
	v_mad_u64_u32 v[16:17], s[6:7], s4, v82, v[16:17]
	v_mul_f64 v[8:9], v[8:9], s[0:1]
	v_add_u32_e32 v17, s2, v17
	global_store_dwordx4 v[16:17], v[8:11], off
	ds_read_b128 v[8:11], v132 offset:10368
	s_waitcnt vmcnt(8) lgkmcnt(1)
	v_mul_f64 v[12:13], v[6:7], v[2:3]
	v_mul_f64 v[2:3], v[4:5], v[2:3]
	v_fmac_f64_e32 v[12:13], v[4:5], v[0:1]
	v_fma_f64 v[0:1], v[0:1], v[6:7], -v[2:3]
	v_mad_u64_u32 v[16:17], s[6:7], s4, v82, v[16:17]
	v_mul_f64 v[12:13], v[12:13], s[0:1]
	v_mul_f64 v[14:15], v[0:1], s[0:1]
	v_add_u32_e32 v17, s2, v17
	global_store_dwordx4 v[16:17], v[12:15], off
	global_load_dwordx4 v[0:3], v[72:73], off offset:2176
	s_waitcnt vmcnt(0) lgkmcnt(0)
	v_mul_f64 v[4:5], v[10:11], v[2:3]
	v_mul_f64 v[2:3], v[8:9], v[2:3]
	v_fmac_f64_e32 v[4:5], v[8:9], v[0:1]
	v_fma_f64 v[0:1], v[0:1], v[10:11], -v[2:3]
	v_mul_f64 v[4:5], v[4:5], s[0:1]
	v_mul_f64 v[6:7], v[0:1], s[0:1]
	v_mad_u64_u32 v[0:1], s[0:1], s4, v82, v[16:17]
	v_add_u32_e32 v1, s2, v1
	global_store_dwordx4 v[0:1], v[4:7], off
.LBB0_15:
	s_endpgm
	.section	.rodata,"a",@progbits
	.p2align	6, 0x0
	.amdhsa_kernel bluestein_single_back_len702_dim1_dp_op_CI_CI
		.amdhsa_group_segment_fixed_size 11232
		.amdhsa_private_segment_fixed_size 0
		.amdhsa_kernarg_size 104
		.amdhsa_user_sgpr_count 2
		.amdhsa_user_sgpr_dispatch_ptr 0
		.amdhsa_user_sgpr_queue_ptr 0
		.amdhsa_user_sgpr_kernarg_segment_ptr 1
		.amdhsa_user_sgpr_dispatch_id 0
		.amdhsa_user_sgpr_kernarg_preload_length 0
		.amdhsa_user_sgpr_kernarg_preload_offset 0
		.amdhsa_user_sgpr_private_segment_size 0
		.amdhsa_uses_dynamic_stack 0
		.amdhsa_enable_private_segment 0
		.amdhsa_system_sgpr_workgroup_id_x 1
		.amdhsa_system_sgpr_workgroup_id_y 0
		.amdhsa_system_sgpr_workgroup_id_z 0
		.amdhsa_system_sgpr_workgroup_info 0
		.amdhsa_system_vgpr_workitem_id 0
		.amdhsa_next_free_vgpr 254
		.amdhsa_next_free_sgpr 46
		.amdhsa_accum_offset 256
		.amdhsa_reserve_vcc 1
		.amdhsa_float_round_mode_32 0
		.amdhsa_float_round_mode_16_64 0
		.amdhsa_float_denorm_mode_32 3
		.amdhsa_float_denorm_mode_16_64 3
		.amdhsa_dx10_clamp 1
		.amdhsa_ieee_mode 1
		.amdhsa_fp16_overflow 0
		.amdhsa_tg_split 0
		.amdhsa_exception_fp_ieee_invalid_op 0
		.amdhsa_exception_fp_denorm_src 0
		.amdhsa_exception_fp_ieee_div_zero 0
		.amdhsa_exception_fp_ieee_overflow 0
		.amdhsa_exception_fp_ieee_underflow 0
		.amdhsa_exception_fp_ieee_inexact 0
		.amdhsa_exception_int_div_zero 0
	.end_amdhsa_kernel
	.text
.Lfunc_end0:
	.size	bluestein_single_back_len702_dim1_dp_op_CI_CI, .Lfunc_end0-bluestein_single_back_len702_dim1_dp_op_CI_CI
                                        ; -- End function
	.section	.AMDGPU.csdata,"",@progbits
; Kernel info:
; codeLenInByte = 14416
; NumSgprs: 52
; NumVgprs: 254
; NumAgprs: 0
; TotalNumVgprs: 254
; ScratchSize: 0
; MemoryBound: 0
; FloatMode: 240
; IeeeMode: 1
; LDSByteSize: 11232 bytes/workgroup (compile time only)
; SGPRBlocks: 6
; VGPRBlocks: 31
; NumSGPRsForWavesPerEU: 52
; NumVGPRsForWavesPerEU: 254
; AccumOffset: 256
; Occupancy: 2
; WaveLimiterHint : 1
; COMPUTE_PGM_RSRC2:SCRATCH_EN: 0
; COMPUTE_PGM_RSRC2:USER_SGPR: 2
; COMPUTE_PGM_RSRC2:TRAP_HANDLER: 0
; COMPUTE_PGM_RSRC2:TGID_X_EN: 1
; COMPUTE_PGM_RSRC2:TGID_Y_EN: 0
; COMPUTE_PGM_RSRC2:TGID_Z_EN: 0
; COMPUTE_PGM_RSRC2:TIDIG_COMP_CNT: 0
; COMPUTE_PGM_RSRC3_GFX90A:ACCUM_OFFSET: 63
; COMPUTE_PGM_RSRC3_GFX90A:TG_SPLIT: 0
	.text
	.p2alignl 6, 3212836864
	.fill 256, 4, 3212836864
	.type	__hip_cuid_cd3448e6daaa421,@object ; @__hip_cuid_cd3448e6daaa421
	.section	.bss,"aw",@nobits
	.globl	__hip_cuid_cd3448e6daaa421
__hip_cuid_cd3448e6daaa421:
	.byte	0                               ; 0x0
	.size	__hip_cuid_cd3448e6daaa421, 1

	.ident	"AMD clang version 19.0.0git (https://github.com/RadeonOpenCompute/llvm-project roc-6.4.0 25133 c7fe45cf4b819c5991fe208aaa96edf142730f1d)"
	.section	".note.GNU-stack","",@progbits
	.addrsig
	.addrsig_sym __hip_cuid_cd3448e6daaa421
	.amdgpu_metadata
---
amdhsa.kernels:
  - .agpr_count:     0
    .args:
      - .actual_access:  read_only
        .address_space:  global
        .offset:         0
        .size:           8
        .value_kind:     global_buffer
      - .actual_access:  read_only
        .address_space:  global
        .offset:         8
        .size:           8
        .value_kind:     global_buffer
      - .actual_access:  read_only
        .address_space:  global
        .offset:         16
        .size:           8
        .value_kind:     global_buffer
      - .actual_access:  read_only
        .address_space:  global
        .offset:         24
        .size:           8
        .value_kind:     global_buffer
      - .actual_access:  read_only
        .address_space:  global
        .offset:         32
        .size:           8
        .value_kind:     global_buffer
      - .offset:         40
        .size:           8
        .value_kind:     by_value
      - .address_space:  global
        .offset:         48
        .size:           8
        .value_kind:     global_buffer
      - .address_space:  global
        .offset:         56
        .size:           8
        .value_kind:     global_buffer
      - .address_space:  global
        .offset:         64
        .size:           8
        .value_kind:     global_buffer
      - .address_space:  global
        .offset:         72
        .size:           8
        .value_kind:     global_buffer
      - .offset:         80
        .size:           4
        .value_kind:     by_value
      - .address_space:  global
        .offset:         88
        .size:           8
        .value_kind:     global_buffer
      - .address_space:  global
        .offset:         96
        .size:           8
        .value_kind:     global_buffer
    .group_segment_fixed_size: 11232
    .kernarg_segment_align: 8
    .kernarg_segment_size: 104
    .language:       OpenCL C
    .language_version:
      - 2
      - 0
    .max_flat_workgroup_size: 117
    .name:           bluestein_single_back_len702_dim1_dp_op_CI_CI
    .private_segment_fixed_size: 0
    .sgpr_count:     52
    .sgpr_spill_count: 0
    .symbol:         bluestein_single_back_len702_dim1_dp_op_CI_CI.kd
    .uniform_work_group_size: 1
    .uses_dynamic_stack: false
    .vgpr_count:     254
    .vgpr_spill_count: 0
    .wavefront_size: 64
amdhsa.target:   amdgcn-amd-amdhsa--gfx950
amdhsa.version:
  - 1
  - 2
...

	.end_amdgpu_metadata
